;; amdgpu-corpus repo=ROCm/rocFFT kind=compiled arch=gfx1100 opt=O3
	.text
	.amdgcn_target "amdgcn-amd-amdhsa--gfx1100"
	.amdhsa_code_object_version 6
	.protected	fft_rtc_fwd_len1701_factors_3_3_3_3_3_7_wgs_63_tpt_63_halfLds_dp_ip_CI_unitstride_sbrr_dirReg ; -- Begin function fft_rtc_fwd_len1701_factors_3_3_3_3_3_7_wgs_63_tpt_63_halfLds_dp_ip_CI_unitstride_sbrr_dirReg
	.globl	fft_rtc_fwd_len1701_factors_3_3_3_3_3_7_wgs_63_tpt_63_halfLds_dp_ip_CI_unitstride_sbrr_dirReg
	.p2align	8
	.type	fft_rtc_fwd_len1701_factors_3_3_3_3_3_7_wgs_63_tpt_63_halfLds_dp_ip_CI_unitstride_sbrr_dirReg,@function
fft_rtc_fwd_len1701_factors_3_3_3_3_3_7_wgs_63_tpt_63_halfLds_dp_ip_CI_unitstride_sbrr_dirReg: ; @fft_rtc_fwd_len1701_factors_3_3_3_3_3_7_wgs_63_tpt_63_halfLds_dp_ip_CI_unitstride_sbrr_dirReg
; %bb.0:
	s_clause 0x2
	s_load_b128 s[4:7], s[0:1], 0x0
	s_load_b64 s[8:9], s[0:1], 0x50
	s_load_b64 s[10:11], s[0:1], 0x18
	v_mul_u32_u24_e32 v1, 0x411, v0
	v_mov_b32_e32 v3, 0
	v_mov_b32_e32 v4, 0
	s_delay_alu instid0(VALU_DEP_3) | instskip(SKIP_1) | instid1(VALU_DEP_1)
	v_lshrrev_b32_e32 v2, 16, v1
	v_mov_b32_e32 v1, 0
	v_dual_mov_b32 v6, v1 :: v_dual_add_nc_u32 v5, s15, v2
	s_waitcnt lgkmcnt(0)
	v_cmp_lt_u64_e64 s2, s[6:7], 2
	s_delay_alu instid0(VALU_DEP_1)
	s_and_b32 vcc_lo, exec_lo, s2
	s_cbranch_vccnz .LBB0_8
; %bb.1:
	s_load_b64 s[2:3], s[0:1], 0x10
	v_mov_b32_e32 v3, 0
	s_add_u32 s12, s10, 8
	v_mov_b32_e32 v4, 0
	s_addc_u32 s13, s11, 0
	s_mov_b64 s[16:17], 1
	s_waitcnt lgkmcnt(0)
	s_add_u32 s14, s2, 8
	s_addc_u32 s15, s3, 0
.LBB0_2:                                ; =>This Inner Loop Header: Depth=1
	s_load_b64 s[18:19], s[14:15], 0x0
                                        ; implicit-def: $vgpr7_vgpr8
	s_mov_b32 s2, exec_lo
	s_waitcnt lgkmcnt(0)
	v_or_b32_e32 v2, s19, v6
	s_delay_alu instid0(VALU_DEP_1)
	v_cmpx_ne_u64_e32 0, v[1:2]
	s_xor_b32 s3, exec_lo, s2
	s_cbranch_execz .LBB0_4
; %bb.3:                                ;   in Loop: Header=BB0_2 Depth=1
	v_cvt_f32_u32_e32 v2, s18
	v_cvt_f32_u32_e32 v7, s19
	s_sub_u32 s2, 0, s18
	s_subb_u32 s20, 0, s19
	s_delay_alu instid0(VALU_DEP_1) | instskip(NEXT) | instid1(VALU_DEP_1)
	v_fmac_f32_e32 v2, 0x4f800000, v7
	v_rcp_f32_e32 v2, v2
	s_waitcnt_depctr 0xfff
	v_mul_f32_e32 v2, 0x5f7ffffc, v2
	s_delay_alu instid0(VALU_DEP_1) | instskip(NEXT) | instid1(VALU_DEP_1)
	v_mul_f32_e32 v7, 0x2f800000, v2
	v_trunc_f32_e32 v7, v7
	s_delay_alu instid0(VALU_DEP_1) | instskip(SKIP_1) | instid1(VALU_DEP_2)
	v_fmac_f32_e32 v2, 0xcf800000, v7
	v_cvt_u32_f32_e32 v7, v7
	v_cvt_u32_f32_e32 v2, v2
	s_delay_alu instid0(VALU_DEP_2) | instskip(NEXT) | instid1(VALU_DEP_2)
	v_mul_lo_u32 v8, s2, v7
	v_mul_hi_u32 v9, s2, v2
	v_mul_lo_u32 v10, s20, v2
	s_delay_alu instid0(VALU_DEP_2) | instskip(SKIP_1) | instid1(VALU_DEP_2)
	v_add_nc_u32_e32 v8, v9, v8
	v_mul_lo_u32 v9, s2, v2
	v_add_nc_u32_e32 v8, v8, v10
	s_delay_alu instid0(VALU_DEP_2) | instskip(NEXT) | instid1(VALU_DEP_2)
	v_mul_hi_u32 v10, v2, v9
	v_mul_lo_u32 v11, v2, v8
	v_mul_hi_u32 v12, v2, v8
	v_mul_hi_u32 v13, v7, v9
	v_mul_lo_u32 v9, v7, v9
	v_mul_hi_u32 v14, v7, v8
	v_mul_lo_u32 v8, v7, v8
	v_add_co_u32 v10, vcc_lo, v10, v11
	v_add_co_ci_u32_e32 v11, vcc_lo, 0, v12, vcc_lo
	s_delay_alu instid0(VALU_DEP_2) | instskip(NEXT) | instid1(VALU_DEP_2)
	v_add_co_u32 v9, vcc_lo, v10, v9
	v_add_co_ci_u32_e32 v9, vcc_lo, v11, v13, vcc_lo
	v_add_co_ci_u32_e32 v10, vcc_lo, 0, v14, vcc_lo
	s_delay_alu instid0(VALU_DEP_2) | instskip(NEXT) | instid1(VALU_DEP_2)
	v_add_co_u32 v8, vcc_lo, v9, v8
	v_add_co_ci_u32_e32 v9, vcc_lo, 0, v10, vcc_lo
	s_delay_alu instid0(VALU_DEP_2) | instskip(NEXT) | instid1(VALU_DEP_2)
	v_add_co_u32 v2, vcc_lo, v2, v8
	v_add_co_ci_u32_e32 v7, vcc_lo, v7, v9, vcc_lo
	s_delay_alu instid0(VALU_DEP_2) | instskip(SKIP_1) | instid1(VALU_DEP_3)
	v_mul_hi_u32 v8, s2, v2
	v_mul_lo_u32 v10, s20, v2
	v_mul_lo_u32 v9, s2, v7
	s_delay_alu instid0(VALU_DEP_1) | instskip(SKIP_1) | instid1(VALU_DEP_2)
	v_add_nc_u32_e32 v8, v8, v9
	v_mul_lo_u32 v9, s2, v2
	v_add_nc_u32_e32 v8, v8, v10
	s_delay_alu instid0(VALU_DEP_2) | instskip(NEXT) | instid1(VALU_DEP_2)
	v_mul_hi_u32 v10, v2, v9
	v_mul_lo_u32 v11, v2, v8
	v_mul_hi_u32 v12, v2, v8
	v_mul_hi_u32 v13, v7, v9
	v_mul_lo_u32 v9, v7, v9
	v_mul_hi_u32 v14, v7, v8
	v_mul_lo_u32 v8, v7, v8
	v_add_co_u32 v10, vcc_lo, v10, v11
	v_add_co_ci_u32_e32 v11, vcc_lo, 0, v12, vcc_lo
	s_delay_alu instid0(VALU_DEP_2) | instskip(NEXT) | instid1(VALU_DEP_2)
	v_add_co_u32 v9, vcc_lo, v10, v9
	v_add_co_ci_u32_e32 v9, vcc_lo, v11, v13, vcc_lo
	v_add_co_ci_u32_e32 v10, vcc_lo, 0, v14, vcc_lo
	s_delay_alu instid0(VALU_DEP_2) | instskip(NEXT) | instid1(VALU_DEP_2)
	v_add_co_u32 v8, vcc_lo, v9, v8
	v_add_co_ci_u32_e32 v9, vcc_lo, 0, v10, vcc_lo
	s_delay_alu instid0(VALU_DEP_2) | instskip(NEXT) | instid1(VALU_DEP_2)
	v_add_co_u32 v2, vcc_lo, v2, v8
	v_add_co_ci_u32_e32 v13, vcc_lo, v7, v9, vcc_lo
	s_delay_alu instid0(VALU_DEP_2) | instskip(SKIP_1) | instid1(VALU_DEP_3)
	v_mul_hi_u32 v14, v5, v2
	v_mad_u64_u32 v[9:10], null, v6, v2, 0
	v_mad_u64_u32 v[7:8], null, v5, v13, 0
	;; [unrolled: 1-line block ×3, first 2 shown]
	s_delay_alu instid0(VALU_DEP_2) | instskip(NEXT) | instid1(VALU_DEP_3)
	v_add_co_u32 v2, vcc_lo, v14, v7
	v_add_co_ci_u32_e32 v7, vcc_lo, 0, v8, vcc_lo
	s_delay_alu instid0(VALU_DEP_2) | instskip(NEXT) | instid1(VALU_DEP_2)
	v_add_co_u32 v2, vcc_lo, v2, v9
	v_add_co_ci_u32_e32 v2, vcc_lo, v7, v10, vcc_lo
	v_add_co_ci_u32_e32 v7, vcc_lo, 0, v12, vcc_lo
	s_delay_alu instid0(VALU_DEP_2) | instskip(NEXT) | instid1(VALU_DEP_2)
	v_add_co_u32 v2, vcc_lo, v2, v11
	v_add_co_ci_u32_e32 v9, vcc_lo, 0, v7, vcc_lo
	s_delay_alu instid0(VALU_DEP_2) | instskip(SKIP_1) | instid1(VALU_DEP_3)
	v_mul_lo_u32 v10, s19, v2
	v_mad_u64_u32 v[7:8], null, s18, v2, 0
	v_mul_lo_u32 v11, s18, v9
	s_delay_alu instid0(VALU_DEP_2) | instskip(NEXT) | instid1(VALU_DEP_2)
	v_sub_co_u32 v7, vcc_lo, v5, v7
	v_add3_u32 v8, v8, v11, v10
	s_delay_alu instid0(VALU_DEP_1) | instskip(NEXT) | instid1(VALU_DEP_1)
	v_sub_nc_u32_e32 v10, v6, v8
	v_subrev_co_ci_u32_e64 v10, s2, s19, v10, vcc_lo
	v_add_co_u32 v11, s2, v2, 2
	s_delay_alu instid0(VALU_DEP_1) | instskip(SKIP_3) | instid1(VALU_DEP_3)
	v_add_co_ci_u32_e64 v12, s2, 0, v9, s2
	v_sub_co_u32 v13, s2, v7, s18
	v_sub_co_ci_u32_e32 v8, vcc_lo, v6, v8, vcc_lo
	v_subrev_co_ci_u32_e64 v10, s2, 0, v10, s2
	v_cmp_le_u32_e32 vcc_lo, s18, v13
	s_delay_alu instid0(VALU_DEP_3) | instskip(SKIP_1) | instid1(VALU_DEP_4)
	v_cmp_eq_u32_e64 s2, s19, v8
	v_cndmask_b32_e64 v13, 0, -1, vcc_lo
	v_cmp_le_u32_e32 vcc_lo, s19, v10
	v_cndmask_b32_e64 v14, 0, -1, vcc_lo
	v_cmp_le_u32_e32 vcc_lo, s18, v7
	;; [unrolled: 2-line block ×3, first 2 shown]
	v_cndmask_b32_e64 v15, 0, -1, vcc_lo
	v_cmp_eq_u32_e32 vcc_lo, s19, v10
	s_delay_alu instid0(VALU_DEP_2) | instskip(SKIP_3) | instid1(VALU_DEP_3)
	v_cndmask_b32_e64 v7, v15, v7, s2
	v_cndmask_b32_e32 v10, v14, v13, vcc_lo
	v_add_co_u32 v13, vcc_lo, v2, 1
	v_add_co_ci_u32_e32 v14, vcc_lo, 0, v9, vcc_lo
	v_cmp_ne_u32_e32 vcc_lo, 0, v10
	s_delay_alu instid0(VALU_DEP_2) | instskip(NEXT) | instid1(VALU_DEP_4)
	v_cndmask_b32_e32 v8, v14, v12, vcc_lo
	v_cndmask_b32_e32 v10, v13, v11, vcc_lo
	v_cmp_ne_u32_e32 vcc_lo, 0, v7
	s_delay_alu instid0(VALU_DEP_2)
	v_dual_cndmask_b32 v7, v2, v10 :: v_dual_cndmask_b32 v8, v9, v8
.LBB0_4:                                ;   in Loop: Header=BB0_2 Depth=1
	s_and_not1_saveexec_b32 s2, s3
	s_cbranch_execz .LBB0_6
; %bb.5:                                ;   in Loop: Header=BB0_2 Depth=1
	v_cvt_f32_u32_e32 v2, s18
	s_sub_i32 s3, 0, s18
	s_delay_alu instid0(VALU_DEP_1) | instskip(SKIP_2) | instid1(VALU_DEP_1)
	v_rcp_iflag_f32_e32 v2, v2
	s_waitcnt_depctr 0xfff
	v_mul_f32_e32 v2, 0x4f7ffffe, v2
	v_cvt_u32_f32_e32 v2, v2
	s_delay_alu instid0(VALU_DEP_1) | instskip(NEXT) | instid1(VALU_DEP_1)
	v_mul_lo_u32 v7, s3, v2
	v_mul_hi_u32 v7, v2, v7
	s_delay_alu instid0(VALU_DEP_1) | instskip(NEXT) | instid1(VALU_DEP_1)
	v_add_nc_u32_e32 v2, v2, v7
	v_mul_hi_u32 v2, v5, v2
	s_delay_alu instid0(VALU_DEP_1) | instskip(SKIP_1) | instid1(VALU_DEP_2)
	v_mul_lo_u32 v7, v2, s18
	v_add_nc_u32_e32 v8, 1, v2
	v_sub_nc_u32_e32 v7, v5, v7
	s_delay_alu instid0(VALU_DEP_1) | instskip(SKIP_1) | instid1(VALU_DEP_2)
	v_subrev_nc_u32_e32 v9, s18, v7
	v_cmp_le_u32_e32 vcc_lo, s18, v7
	v_dual_cndmask_b32 v7, v7, v9 :: v_dual_cndmask_b32 v2, v2, v8
	s_delay_alu instid0(VALU_DEP_1) | instskip(NEXT) | instid1(VALU_DEP_2)
	v_cmp_le_u32_e32 vcc_lo, s18, v7
	v_add_nc_u32_e32 v8, 1, v2
	s_delay_alu instid0(VALU_DEP_1)
	v_dual_cndmask_b32 v7, v2, v8 :: v_dual_mov_b32 v8, v1
.LBB0_6:                                ;   in Loop: Header=BB0_2 Depth=1
	s_or_b32 exec_lo, exec_lo, s2
	s_load_b64 s[2:3], s[12:13], 0x0
	s_delay_alu instid0(VALU_DEP_1) | instskip(NEXT) | instid1(VALU_DEP_2)
	v_mul_lo_u32 v2, v8, s18
	v_mul_lo_u32 v11, v7, s19
	v_mad_u64_u32 v[9:10], null, v7, s18, 0
	s_add_u32 s16, s16, 1
	s_addc_u32 s17, s17, 0
	s_add_u32 s12, s12, 8
	s_addc_u32 s13, s13, 0
	;; [unrolled: 2-line block ×3, first 2 shown]
	s_delay_alu instid0(VALU_DEP_1) | instskip(SKIP_1) | instid1(VALU_DEP_2)
	v_add3_u32 v2, v10, v11, v2
	v_sub_co_u32 v9, vcc_lo, v5, v9
	v_sub_co_ci_u32_e32 v2, vcc_lo, v6, v2, vcc_lo
	s_waitcnt lgkmcnt(0)
	s_delay_alu instid0(VALU_DEP_2) | instskip(NEXT) | instid1(VALU_DEP_2)
	v_mul_lo_u32 v10, s3, v9
	v_mul_lo_u32 v2, s2, v2
	v_mad_u64_u32 v[5:6], null, s2, v9, v[3:4]
	v_cmp_ge_u64_e64 s2, s[16:17], s[6:7]
	s_delay_alu instid0(VALU_DEP_1) | instskip(NEXT) | instid1(VALU_DEP_2)
	s_and_b32 vcc_lo, exec_lo, s2
	v_add3_u32 v4, v10, v6, v2
	s_delay_alu instid0(VALU_DEP_3)
	v_mov_b32_e32 v3, v5
	s_cbranch_vccnz .LBB0_9
; %bb.7:                                ;   in Loop: Header=BB0_2 Depth=1
	v_dual_mov_b32 v5, v7 :: v_dual_mov_b32 v6, v8
	s_branch .LBB0_2
.LBB0_8:
	v_dual_mov_b32 v8, v6 :: v_dual_mov_b32 v7, v5
.LBB0_9:
	s_lshl_b64 s[2:3], s[6:7], 3
                                        ; implicit-def: $vgpr70_vgpr71
                                        ; implicit-def: $vgpr78_vgpr79
                                        ; implicit-def: $vgpr82_vgpr83
                                        ; implicit-def: $vgpr66_vgpr67
                                        ; implicit-def: $vgpr62_vgpr63
                                        ; implicit-def: $vgpr54_vgpr55
                                        ; implicit-def: $vgpr34_vgpr35
                                        ; implicit-def: $vgpr42_vgpr43
                                        ; implicit-def: $vgpr50_vgpr51
                                        ; implicit-def: $vgpr26_vgpr27
                                        ; implicit-def: $vgpr38_vgpr39
                                        ; implicit-def: $vgpr74_vgpr75
                                        ; implicit-def: $vgpr18_vgpr19
                                        ; implicit-def: $vgpr58_vgpr59
                                        ; implicit-def: $vgpr10_vgpr11
                                        ; implicit-def: $vgpr94_vgpr95
                                        ; implicit-def: $vgpr106_vgpr107
                                        ; implicit-def: $vgpr22_vgpr23
                                        ; implicit-def: $vgpr102_vgpr103
                                        ; implicit-def: $vgpr98_vgpr99
                                        ; implicit-def: $vgpr30_vgpr31
                                        ; implicit-def: $vgpr86_vgpr87
                                        ; implicit-def: $vgpr14_vgpr15
                                        ; implicit-def: $vgpr90_vgpr91
                                        ; implicit-def: $vgpr46_vgpr47
	s_delay_alu instid0(SALU_CYCLE_1)
	s_add_u32 s2, s10, s2
	s_addc_u32 s3, s11, s3
	s_load_b64 s[2:3], s[2:3], 0x0
	s_load_b64 s[0:1], s[0:1], 0x20
	s_waitcnt lgkmcnt(0)
	v_mul_lo_u32 v5, s2, v8
	v_mul_lo_u32 v6, s3, v7
	v_mad_u64_u32 v[1:2], null, s2, v7, v[3:4]
	v_mul_hi_u32 v3, 0x4104105, v0
	v_cmp_gt_u64_e32 vcc_lo, s[0:1], v[7:8]
	s_delay_alu instid0(VALU_DEP_3) | instskip(NEXT) | instid1(VALU_DEP_3)
	v_add3_u32 v2, v6, v2, v5
                                        ; implicit-def: $vgpr6_vgpr7
	v_mul_u32_u24_e32 v3, 63, v3
	s_delay_alu instid0(VALU_DEP_2) | instskip(NEXT) | instid1(VALU_DEP_2)
	v_lshlrev_b64 v[138:139], 4, v[1:2]
	v_sub_nc_u32_e32 v136, v0, v3
                                        ; implicit-def: $vgpr2_vgpr3
	s_and_saveexec_b32 s1, vcc_lo
	s_cbranch_execz .LBB0_11
; %bb.10:
	v_mov_b32_e32 v137, 0
	s_delay_alu instid0(VALU_DEP_3) | instskip(NEXT) | instid1(VALU_DEP_1)
	v_add_co_u32 v2, s0, s8, v138
	v_add_co_ci_u32_e64 v3, s0, s9, v139, s0
	s_delay_alu instid0(VALU_DEP_3) | instskip(NEXT) | instid1(VALU_DEP_1)
	v_lshlrev_b64 v[0:1], 4, v[136:137]
	v_add_co_u32 v64, s0, v2, v0
	s_delay_alu instid0(VALU_DEP_1) | instskip(SKIP_4) | instid1(VALU_DEP_1)
	v_add_co_ci_u32_e64 v65, s0, v3, v1, s0
	s_clause 0x1
	global_load_b128 v[0:3], v[64:65], off
	global_load_b128 v[4:7], v[64:65], off offset:1008
	v_add_co_u32 v66, s0, 0x2000, v64
	v_add_co_ci_u32_e64 v67, s0, 0, v65, s0
	v_add_co_u32 v68, s0, 0x4000, v64
	s_delay_alu instid0(VALU_DEP_1) | instskip(SKIP_1) | instid1(VALU_DEP_1)
	v_add_co_ci_u32_e64 v69, s0, 0, v65, s0
	v_add_co_u32 v70, s0, 0x5000, v64
	v_add_co_ci_u32_e64 v71, s0, 0, v65, s0
	v_add_co_u32 v60, s0, 0x3000, v64
	s_delay_alu instid0(VALU_DEP_1) | instskip(SKIP_1) | instid1(VALU_DEP_1)
	v_add_co_ci_u32_e64 v61, s0, 0, v65, s0
	v_add_co_u32 v80, s0, 0x1000, v64
	v_add_co_ci_u32_e64 v81, s0, 0, v65, s0
	v_add_co_u32 v108, s0, 0x6000, v64
	s_clause 0xf
	global_load_b128 v[12:15], v[66:67], off offset:1888
	global_load_b128 v[96:99], v[66:67], off offset:2896
	;; [unrolled: 1-line block ×16, first 2 shown]
	v_add_co_ci_u32_e64 v109, s0, 0, v65, s0
	s_clause 0x8
	global_load_b128 v[92:95], v[70:71], off offset:688
	global_load_b128 v[100:103], v[68:69], off offset:3776
	;; [unrolled: 1-line block ×9, first 2 shown]
.LBB0_11:
	s_or_b32 exec_lo, exec_lo, s1
	s_waitcnt vmcnt(6)
	v_add_f64 v[108:109], v[88:89], v[44:45]
	v_add_f64 v[112:113], v[100:101], v[96:97]
	;; [unrolled: 1-line block ×4, first 2 shown]
	s_waitcnt vmcnt(0)
	v_add_f64 v[124:125], v[68:69], v[76:77]
	v_add_f64 v[110:111], v[84:85], v[12:13]
	;; [unrolled: 1-line block ×7, first 2 shown]
	v_add_f64 v[140:141], v[46:47], -v[90:91]
	v_add_f64 v[144:145], v[56:57], v[8:9]
	v_add_f64 v[148:149], v[40:41], v[48:49]
	;; [unrolled: 1-line block ×5, first 2 shown]
	v_add_f64 v[142:143], v[14:15], -v[86:87]
	v_add_f64 v[146:147], v[36:37], v[72:73]
	v_add_f64 v[152:153], v[60:61], v[52:53]
	s_mov_b32 s2, 0xe8584caa
	s_mov_b32 s3, 0x3febb67a
	;; [unrolled: 1-line block ×4, first 2 shown]
	v_add_f64 v[128:129], v[98:99], v[30:31]
	v_add_f64 v[96:97], v[96:97], -v[100:101]
	v_add_f64 v[163:164], v[66:67], v[62:63]
	v_add_f64 v[104:105], v[104:105], -v[92:93]
	v_add_f64 v[44:45], v[44:45], -v[88:89]
	v_add_f64 v[165:166], v[70:71], v[78:79]
	v_add_f64 v[161:162], v[34:35], v[42:43]
	v_mad_u32_u24 v150, v136, 24, 0
	v_add_f64 v[60:61], v[60:61], -v[64:65]
	v_add_f64 v[12:13], v[12:13], -v[84:85]
	v_add_nc_u32_e32 v169, 63, v136
	v_lshl_add_u32 v151, v136, 3, 0
	v_add_nc_u32_e32 v137, 0xbd0, v150
	v_add_nc_u32_e32 v167, 0x11b8, v150
	v_fma_f64 v[0:1], v[108:109], -0.5, v[0:1]
	v_add_f64 v[108:109], v[98:99], -v[102:103]
	v_fma_f64 v[28:29], v[112:113], -0.5, v[28:29]
	v_add_f64 v[112:113], v[58:59], -v[18:19]
	;; [unrolled: 2-line block ×4, first 2 shown]
	v_fma_f64 v[80:81], v[124:125], -0.5, v[80:81]
	v_fma_f64 v[4:5], v[110:111], -0.5, v[4:5]
	v_add_f64 v[110:111], v[106:107], -v[94:95]
	v_fma_f64 v[20:21], v[114:115], -0.5, v[20:21]
	v_add_f64 v[114:115], v[38:39], -v[26:27]
	;; [unrolled: 2-line block ×3, first 2 shown]
	v_fma_f64 v[52:53], v[122:123], -0.5, v[52:53]
	v_add_f64 v[98:99], v[102:103], v[98:99]
	v_add_f64 v[122:123], v[106:107], v[22:23]
	;; [unrolled: 1-line block ×15, first 2 shown]
	v_add_nc_u32_e32 v168, 0xa00, v150
	v_add_nc_u32_e32 v170, 0x17a0, v150
	;; [unrolled: 1-line block ×7, first 2 shown]
	v_fma_f64 v[155:156], v[140:141], s[2:3], v[0:1]
	v_fma_f64 v[0:1], v[140:141], s[6:7], v[0:1]
	;; [unrolled: 1-line block ×10, first 2 shown]
	v_add_f64 v[120:121], v[26:27], v[38:39]
	v_fma_f64 v[157:158], v[142:143], s[2:3], v[4:5]
	v_fma_f64 v[4:5], v[142:143], s[6:7], v[4:5]
	;; [unrolled: 1-line block ×8, first 2 shown]
	v_add_f64 v[118:119], v[18:19], v[58:59]
	v_fma_f64 v[30:31], v[98:99], -0.5, v[30:31]
	v_fma_f64 v[22:23], v[106:107], -0.5, v[22:23]
	v_add_f64 v[24:25], v[36:37], -v[24:25]
	v_add_f64 v[62:63], v[62:63], v[54:55]
	v_fma_f64 v[54:55], v[163:164], -0.5, v[54:55]
	v_add_f64 v[64:65], v[78:79], v[82:83]
	v_add_f64 v[14:15], v[14:15], v[6:7]
	v_add_f64 v[16:17], v[56:57], -v[16:17]
	v_add_f64 v[42:43], v[42:43], v[50:51]
	v_add_f64 v[68:69], v[76:77], -v[68:69]
	v_add_f64 v[32:33], v[40:41], -v[32:33]
	v_fma_f64 v[40:41], v[161:162], -0.5, v[50:51]
	v_add_f64 v[102:103], v[102:103], v[128:129]
	v_add_f64 v[78:79], v[90:91], v[124:125]
	;; [unrolled: 1-line block ×3, first 2 shown]
	v_add_nc_u32_e32 v160, 0x400, v151
	v_add_nc_u32_e32 v159, 0x1c00, v151
	;; [unrolled: 1-line block ×3, first 2 shown]
	ds_store_2addr_b64 v150, v[126:127], v[155:156] offset1:1
	ds_store_2addr_b64 v150, v[130:131], v[157:158] offset0:189 offset1:190
	ds_store_2addr_b64 v150, v[0:1], v[4:5] offset0:2 offset1:191
	ds_store_2addr_b64 v137, v[100:101], v[140:141] offset1:1
	ds_store_2addr_b64 v167, v[92:93], v[142:143] offset1:1
	ds_store_2addr_b64 v168, v[28:29], v[20:21] offset0:60 offset1:249
	ds_store_2addr_b64 v170, v[132:133], v[108:109] offset1:1
	ds_store_2addr_b64 v171, v[8:9], v[134:135] offset0:54 offset1:241
	ds_store_2addr_b64 v172, v[110:111], v[72:73] offset1:1
	ds_store_b64 v150, v[144:145] offset:9072
	ds_store_2addr_b64 v173, v[112:113], v[48:49] offset1:1
	ds_store_b64 v150, v[146:147] offset:10584
	;; [unrolled: 2-line block ×3, first 2 shown]
	ds_store_2addr_b64 v175, v[116:117], v[80:81] offset1:1
	v_fma_f64 v[20:21], v[46:47], -0.5, v[2:3]
	v_add_f64 v[28:29], v[58:59], v[10:11]
	v_fma_f64 v[58:59], v[120:121], -0.5, v[74:75]
	v_fma_f64 v[46:47], v[88:89], -0.5, v[6:7]
	;; [unrolled: 1-line block ×3, first 2 shown]
	v_add_f64 v[52:53], v[38:39], v[74:75]
	v_and_b32_e32 v134, 0xff, v136
	v_and_b32_e32 v135, 0xff, v169
	v_fma_f64 v[56:57], v[118:119], -0.5, v[10:11]
	v_fma_f64 v[74:75], v[96:97], s[6:7], v[30:31]
	v_fma_f64 v[76:77], v[104:105], s[6:7], v[22:23]
	;; [unrolled: 1-line block ×4, first 2 shown]
	v_add_f64 v[62:63], v[66:67], v[62:63]
	v_fma_f64 v[66:67], v[60:61], s[6:7], v[54:55]
	v_fma_f64 v[54:55], v[60:61], s[2:3], v[54:55]
	v_add_f64 v[60:61], v[70:71], v[64:65]
	v_add_f64 v[80:81], v[86:87], v[14:15]
	;; [unrolled: 1-line block ×3, first 2 shown]
	v_mul_lo_u16 v70, 0xab, v134
	v_fma_f64 v[106:107], v[32:33], s[6:7], v[40:41]
	v_fma_f64 v[108:109], v[32:33], s[2:3], v[40:41]
	v_add_nc_u32_e32 v155, 0x2400, v151
	v_add_nc_u32_e32 v146, 0x1400, v151
	v_lshrrev_b16 v141, 9, v70
	v_mul_lo_u16 v70, 0xab, v135
	v_add_nc_u32_e32 v156, 0x2800, v151
	v_add_nc_u32_e32 v157, 0x1800, v151
	;; [unrolled: 1-line block ×3, first 2 shown]
	v_mul_lo_u16 v71, v141, 3
	v_lshrrev_b16 v142, 9, v70
	v_add_nc_u32_e32 v158, 0x800, v151
	v_add_nc_u32_e32 v154, 0x1000, v151
	;; [unrolled: 1-line block ×3, first 2 shown]
	s_waitcnt lgkmcnt(0)
	s_barrier
	buffer_gl0_inv
	ds_load_b64 v[132:133], v151 offset:13104
	ds_load_2addr_b64 v[8:11], v151 offset1:63
	ds_load_2addr_b64 v[0:3], v153 offset0:120 offset1:183
	ds_load_2addr_b64 v[48:51], v152 offset0:110 offset1:173
	;; [unrolled: 1-line block ×4, first 2 shown]
	v_fma_f64 v[84:85], v[44:45], s[6:7], v[20:21]
	v_add_f64 v[82:83], v[18:19], v[28:29]
	v_fma_f64 v[104:105], v[24:25], s[6:7], v[58:59]
	v_fma_f64 v[58:59], v[24:25], s[2:3], v[58:59]
	;; [unrolled: 1-line block ×8, first 2 shown]
	v_add_f64 v[52:53], v[26:27], v[52:53]
	v_fma_f64 v[56:57], v[16:17], s[2:3], v[56:57]
	ds_load_2addr_b64 v[44:47], v155 offset0:108 offset1:171
	ds_load_2addr_b64 v[32:35], v146 offset0:116 offset1:179
	;; [unrolled: 1-line block ×8, first 2 shown]
	s_waitcnt lgkmcnt(0)
	s_barrier
	buffer_gl0_inv
	ds_store_2addr_b64 v137, v[102:103], v[74:75] offset1:1
	ds_store_2addr_b64 v167, v[94:95], v[76:77] offset1:1
	v_add_nc_u32_e32 v137, 0x7e, v136
	v_add_nc_u32_e32 v148, 0xfc, v136
	;; [unrolled: 1-line block ×6, first 2 shown]
	v_and_b32_e32 v165, 0xffff, v148
	v_and_b32_e32 v164, 0xffff, v149
	ds_store_2addr_b64 v150, v[78:79], v[84:85] offset1:1
	ds_store_2addr_b64 v150, v[80:81], v[86:87] offset0:189 offset1:190
	ds_store_2addr_b64 v150, v[88:89], v[90:91] offset0:2 offset1:191
	;; [unrolled: 1-line block ×3, first 2 shown]
	ds_store_2addr_b64 v170, v[82:83], v[98:99] offset1:1
	ds_store_2addr_b64 v171, v[56:57], v[52:53] offset0:54 offset1:241
	ds_store_2addr_b64 v172, v[104:105], v[58:59] offset1:1
	ds_store_b64 v150, v[100:101] offset:9072
	ds_store_2addr_b64 v173, v[106:107], v[108:109] offset1:1
	ds_store_b64 v150, v[62:63] offset:10584
	;; [unrolled: 2-line block ×3, first 2 shown]
	ds_store_2addr_b64 v175, v[64:65], v[68:69] offset1:1
	v_add_nc_u32_e32 v150, 0xbd, v136
	v_sub_nc_u16 v52, v136, v71
	v_mul_lo_u16 v53, v142, 3
	v_and_b32_e32 v170, 0xff, v137
	s_waitcnt lgkmcnt(0)
	v_and_b32_e32 v171, 0xff, v150
	v_and_b32_e32 v143, 0xff, v52
	v_sub_nc_u16 v52, v169, v53
	s_barrier
	buffer_gl0_inv
	v_mul_lo_u16 v58, 0xab, v171
	v_lshlrev_b32_e32 v84, 5, v143
	v_and_b32_e32 v144, 0xff, v52
	v_mul_lo_u16 v52, 0xab, v170
	v_mul_u32_u24_e32 v72, 0xaaab, v165
	v_lshrrev_b16 v173, 9, v58
	global_load_b128 v[60:63], v84, s[4:5] offset:16
	v_lshlrev_b32_e32 v56, 5, v144
	v_lshrrev_b16 v145, 9, v52
	v_lshrrev_b32_e32 v176, 17, v72
	v_mul_lo_u16 v65, v173, 3
	v_mul_u32_u24_e32 v78, 0xaaab, v164
	global_load_b128 v[52:55], v56, s[4:5] offset:16
	v_mul_lo_u16 v57, v145, 3
	v_mul_lo_u16 v77, v176, 3
	v_sub_nc_u16 v65, v150, v65
	v_lshrrev_b32_e32 v177, 17, v78
	v_and_b32_e32 v166, 0xffff, v161
	v_sub_nc_u16 v57, v137, v57
	v_sub_nc_u16 v77, v148, v77
	v_and_b32_e32 v174, 0xff, v65
	v_mul_lo_u16 v80, v177, 3
	v_and_b32_e32 v168, 0xffff, v162
	v_and_b32_e32 v172, 0xff, v57
	;; [unrolled: 1-line block ×3, first 2 shown]
	v_lshlrev_b32_e32 v76, 5, v174
	v_sub_nc_u16 v86, v149, v80
	v_mul_u32_u24_e32 v87, 0xaaab, v166
	v_lshlrev_b32_e32 v64, 5, v172
	v_lshlrev_b32_e32 v85, 5, v175
	s_clause 0x7
	global_load_b128 v[72:75], v76, s[4:5] offset:16
	global_load_b128 v[76:79], v76, s[4:5]
	global_load_b128 v[56:59], v56, s[4:5]
	;; [unrolled: 1-line block ×3, first 2 shown]
	global_load_b128 v[64:67], v64, s[4:5] offset:16
	global_load_b128 v[116:119], v84, s[4:5]
	global_load_b128 v[80:83], v85, s[4:5]
	global_load_b128 v[88:91], v85, s[4:5] offset:16
	v_and_b32_e32 v167, 0xffff, v163
	v_mul_u32_u24_e32 v84, 0xaaab, v168
	v_lshrrev_b32_e32 v184, 17, v87
	v_and_b32_e32 v183, 0xffff, v86
	v_mul_lo_u16 v201, v135, 57
	v_mul_u32_u24_e32 v85, 0xaaab, v167
	v_lshrrev_b32_e32 v178, 17, v84
	v_mul_lo_u16 v87, v184, 3
	v_lshlrev_b32_e32 v86, 5, v183
	v_mul_u32_u24_e32 v204, 0x48, v176
	v_lshrrev_b32_e32 v179, 17, v85
	v_mul_lo_u16 v96, v178, 3
	v_sub_nc_u16 v97, v161, v87
	s_clause 0x1
	global_load_b128 v[92:95], v86, s[4:5] offset:16
	global_load_b128 v[84:87], v86, s[4:5]
	v_mul_lo_u16 v98, v179, 3
	v_sub_nc_u16 v96, v162, v96
	v_and_b32_e32 v181, 0xffff, v97
	v_mul_u32_u24_e32 v205, 0x48, v177
	v_and_b32_e32 v142, 0xffff, v142
	v_sub_nc_u16 v97, v163, v98
	v_and_b32_e32 v180, 0xffff, v96
	v_lshlrev_b32_e32 v96, 5, v181
	v_and_b32_e32 v145, 0xffff, v145
	v_and_b32_e32 v173, 0xffff, v173
	;; [unrolled: 1-line block ×3, first 2 shown]
	v_lshlrev_b32_e32 v100, 5, v180
	global_load_b128 v[104:107], v96, s[4:5]
	v_mul_u32_u24_e32 v206, 0x48, v184
	v_mul_u32_u24_e32 v184, 0x48, v142
	v_lshlrev_b32_e32 v120, 5, v182
	s_clause 0x4
	global_load_b128 v[108:111], v96, s[4:5] offset:16
	global_load_b128 v[96:99], v100, s[4:5] offset:16
	global_load_b128 v[100:103], v100, s[4:5]
	global_load_b128 v[112:115], v120, s[4:5]
	global_load_b128 v[120:123], v120, s[4:5] offset:16
	ds_load_2addr_b64 v[185:188], v152 offset0:110 offset1:173
	ds_load_2addr_b64 v[128:131], v154 offset0:118 offset1:181
	;; [unrolled: 1-line block ×3, first 2 shown]
	v_mul_u32_u24_e32 v145, 0x48, v145
	v_lshlrev_b32_e32 v144, 3, v144
	v_lshlrev_b32_e32 v172, 3, v172
	v_mul_u32_u24_e32 v173, 0x48, v173
	v_lshlrev_b32_e32 v174, 3, v174
	v_lshlrev_b32_e32 v175, 3, v175
	;; [unrolled: 1-line block ×3, first 2 shown]
	v_mul_lo_u16 v202, v170, 57
	v_cmp_gt_u32_e64 s0, 18, v136
	v_add3_u32 v207, 0, v173, v174
	v_add3_u32 v204, 0, v204, v175
	;; [unrolled: 1-line block ×3, first 2 shown]
	s_waitcnt vmcnt(17) lgkmcnt(2)
	v_mul_f64 v[189:190], v[185:186], v[62:63]
	v_mul_f64 v[62:63], v[48:49], v[62:63]
	s_waitcnt vmcnt(16)
	v_mul_f64 v[191:192], v[187:188], v[54:55]
	v_mul_f64 v[54:55], v[50:51], v[54:55]
	s_waitcnt vmcnt(13) lgkmcnt(1)
	v_mul_f64 v[193:194], v[128:129], v[58:59]
	v_mul_f64 v[195:196], v[36:37], v[58:59]
	s_waitcnt vmcnt(12)
	v_mul_f64 v[197:198], v[130:131], v[70:71]
	v_mul_f64 v[70:71], v[38:39], v[70:71]
	v_mul_lo_u16 v58, v134, 57
	s_waitcnt vmcnt(11) lgkmcnt(0)
	v_mul_f64 v[199:200], v[124:125], v[66:67]
	v_mul_f64 v[66:67], v[44:45], v[66:67]
	s_delay_alu instid0(VALU_DEP_3)
	v_lshrrev_b16 v140, 9, v58
	v_fma_f64 v[189:190], v[48:49], v[60:61], -v[189:190]
	v_fma_f64 v[185:186], v[185:186], v[60:61], v[62:63]
	ds_load_2addr_b64 v[58:61], v146 offset0:116 offset1:179
	v_mul_f64 v[62:63], v[126:127], v[74:75]
	v_mul_f64 v[74:75], v[46:47], v[74:75]
	v_and_b32_e32 v48, 0xffff, v141
	v_fma_f64 v[191:192], v[50:51], v[52:53], -v[191:192]
	v_lshrrev_b16 v141, 9, v201
	v_fma_f64 v[187:188], v[187:188], v[52:53], v[54:55]
	ds_load_2addr_b64 v[52:55], v156 offset0:106 offset1:169
	v_mul_u32_u24_e32 v201, 0x48, v48
	ds_load_2addr_b64 v[48:51], v153 offset0:120 offset1:183
	v_mul_lo_u16 v203, v140, 9
	s_delay_alu instid0(VALU_DEP_1)
	v_sub_nc_u16 v203, v136, v203
	v_fma_f64 v[176:177], v[36:37], v[56:57], -v[193:194]
	v_fma_f64 v[56:57], v[128:129], v[56:57], v[195:196]
	s_waitcnt lgkmcnt(2)
	v_mul_f64 v[128:129], v[58:59], v[78:79]
	v_mul_f64 v[78:79], v[32:33], v[78:79]
	v_fma_f64 v[193:194], v[38:39], v[68:69], -v[197:198]
	v_fma_f64 v[68:69], v[130:131], v[68:69], v[70:71]
	s_waitcnt vmcnt(9)
	v_mul_f64 v[70:71], v[34:35], v[82:83]
	v_mul_f64 v[195:196], v[60:61], v[82:83]
	s_waitcnt lgkmcnt(0)
	v_mul_f64 v[82:83], v[50:51], v[118:119]
	v_mul_f64 v[118:119], v[2:3], v[118:119]
	v_lshlrev_b32_e32 v197, 3, v143
	ds_load_2addr_b64 v[36:39], v157 offset0:114 offset1:177
	v_fma_f64 v[130:131], v[44:45], v[64:65], -v[199:200]
	v_fma_f64 v[66:67], v[124:125], v[64:65], v[66:67]
	s_waitcnt vmcnt(8)
	v_mul_f64 v[124:125], v[52:53], v[90:91]
	v_add3_u32 v199, 0, v201, v197
	v_fma_f64 v[197:198], v[46:47], v[72:73], -v[62:63]
	ds_load_2addr_b64 v[44:47], v147 offset0:104 offset1:167
	v_fma_f64 v[72:73], v[126:127], v[72:73], v[74:75]
	ds_load_2addr_b64 v[62:65], v159 offset0:112 offset1:175
	ds_load_b64 v[74:75], v151 offset:13104
	s_waitcnt vmcnt(7)
	v_mul_f64 v[142:143], v[54:55], v[94:95]
	v_add3_u32 v200, 0, v184, v144
	v_add3_u32 v201, 0, v145, v172
	v_mul_f64 v[90:91], v[28:29], v[90:91]
	v_mul_f64 v[94:95], v[30:31], v[94:95]
	s_waitcnt vmcnt(6) lgkmcnt(3)
	v_mul_f64 v[126:127], v[36:37], v[86:87]
	s_waitcnt vmcnt(5)
	v_mul_f64 v[144:145], v[38:39], v[106:107]
	s_waitcnt vmcnt(2) lgkmcnt(1)
	v_mul_f64 v[174:175], v[62:63], v[102:103]
	v_fma_f64 v[128:129], v[32:33], v[76:77], -v[128:129]
	v_fma_f64 v[58:59], v[58:59], v[76:77], v[78:79]
	v_mul_f64 v[76:77], v[44:45], v[110:111]
	v_mul_f64 v[78:79], v[46:47], v[98:99]
	s_waitcnt vmcnt(1)
	v_mul_f64 v[183:184], v[64:65], v[114:115]
	v_fma_f64 v[60:61], v[60:61], v[80:81], v[70:71]
	s_waitcnt vmcnt(0) lgkmcnt(0)
	v_mul_f64 v[70:71], v[74:75], v[122:123]
	v_fma_f64 v[172:173], v[34:35], v[80:81], -v[195:196]
	v_mul_f64 v[80:81], v[24:25], v[86:87]
	v_mul_f64 v[86:87], v[26:27], v[106:107]
	;; [unrolled: 1-line block ×3, first 2 shown]
	v_fma_f64 v[2:3], v[2:3], v[116:117], -v[82:83]
	v_fma_f64 v[82:83], v[50:51], v[116:117], v[118:119]
	v_mul_f64 v[98:99], v[22:23], v[98:99]
	v_mul_f64 v[102:103], v[40:41], v[102:103]
	v_mul_f64 v[114:115], v[42:43], v[114:115]
	v_mul_f64 v[118:119], v[132:133], v[122:123]
	v_fma_f64 v[110:111], v[28:29], v[88:89], -v[124:125]
	v_mul_lo_u16 v28, v141, 9
	v_fma_f64 v[116:117], v[30:31], v[92:93], -v[142:143]
	v_mul_u32_u24_e32 v29, 0x48, v178
	v_mul_u32_u24_e32 v30, 0x48, v179
	v_fma_f64 v[88:89], v[52:53], v[88:89], v[90:91]
	v_fma_f64 v[54:55], v[54:55], v[92:93], v[94:95]
	v_lshlrev_b32_e32 v31, 3, v181
	v_sub_nc_u16 v28, v169, v28
	v_and_b32_e32 v142, 0xff, v203
	v_fma_f64 v[122:123], v[24:25], v[84:85], -v[126:127]
	v_fma_f64 v[90:91], v[26:27], v[104:105], -v[144:145]
	v_lshlrev_b32_e32 v24, 3, v180
	v_lshlrev_b32_e32 v25, 3, v182
	v_add3_u32 v203, 0, v206, v31
	v_and_b32_e32 v143, 0xff, v28
	v_lshlrev_b32_e32 v206, 5, v142
	v_add3_u32 v208, 0, v29, v24
	v_fma_f64 v[40:41], v[40:41], v[100:101], -v[174:175]
	v_add3_u32 v209, 0, v30, v25
	ds_load_2addr_b64 v[28:31], v151 offset1:63
	v_fma_f64 v[20:21], v[20:21], v[108:109], -v[76:77]
	v_fma_f64 v[22:23], v[22:23], v[96:97], -v[78:79]
	;; [unrolled: 1-line block ×3, first 2 shown]
	v_add_f64 v[78:79], v[176:177], v[191:192]
	v_fma_f64 v[70:71], v[132:133], v[120:121], -v[70:71]
	v_add_f64 v[92:93], v[128:129], v[197:198]
	v_fma_f64 v[36:37], v[36:37], v[84:85], v[80:81]
	v_fma_f64 v[38:39], v[38:39], v[104:105], v[86:87]
	;; [unrolled: 1-line block ×3, first 2 shown]
	v_add_f64 v[84:85], v[56:57], v[187:188]
	v_add_f64 v[80:81], v[82:83], v[185:186]
	v_fma_f64 v[46:47], v[46:47], v[96:97], v[98:99]
	v_fma_f64 v[62:63], v[62:63], v[100:101], v[102:103]
	;; [unrolled: 1-line block ×4, first 2 shown]
	v_add_f64 v[76:77], v[2:3], v[189:190]
	v_add_f64 v[86:87], v[193:194], v[130:131]
	;; [unrolled: 1-line block ×8, first 2 shown]
	v_add_f64 v[100:101], v[82:83], -v[185:186]
	s_waitcnt lgkmcnt(0)
	v_add_f64 v[82:83], v[28:29], v[82:83]
	v_add_f64 v[104:105], v[30:31], v[56:57]
	ds_load_2addr_b64 v[32:35], v151 offset0:126 offset1:189
	ds_load_2addr_b64 v[50:53], v160 offset0:124 offset1:187
	v_add_f64 v[98:99], v[122:123], v[116:117]
	ds_load_2addr_b64 v[24:27], v158 offset0:122 offset1:185
	v_add_f64 v[106:107], v[4:5], v[193:194]
	v_add_f64 v[108:109], v[68:69], -v[66:67]
	v_add_f64 v[124:125], v[16:17], v[172:173]
	v_add_f64 v[2:3], v[2:3], -v[189:190]
	v_add_f64 v[126:127], v[60:61], -v[88:89]
	;; [unrolled: 1-line block ×3, first 2 shown]
	v_add_f64 v[112:113], v[6:7], v[128:129]
	v_add_f64 v[176:177], v[176:177], -v[191:192]
	v_add_f64 v[144:145], v[18:19], v[122:123]
	v_add_f64 v[132:133], v[90:91], v[20:21]
	;; [unrolled: 1-line block ×4, first 2 shown]
	v_fma_f64 v[10:11], v[78:79], -0.5, v[10:11]
	v_add_f64 v[180:181], v[42:43], v[70:71]
	v_fma_f64 v[6:7], v[92:93], -0.5, v[6:7]
	v_add_f64 v[182:183], v[36:37], v[54:55]
	s_waitcnt lgkmcnt(2)
	v_add_f64 v[68:69], v[32:33], v[68:69]
	v_add_f64 v[78:79], v[38:39], v[44:45]
	v_fma_f64 v[30:31], v[84:85], -0.5, v[30:31]
	v_fma_f64 v[28:29], v[80:81], -0.5, v[28:29]
	v_add_f64 v[120:121], v[34:35], v[58:59]
	v_add_f64 v[80:81], v[62:63], v[46:47]
	s_waitcnt lgkmcnt(1)
	v_add_f64 v[60:61], v[50:51], v[60:61]
	v_add_f64 v[84:85], v[64:65], v[74:75]
	v_fma_f64 v[8:9], v[76:77], -0.5, v[8:9]
	v_add_f64 v[76:77], v[14:15], v[40:41]
	v_fma_f64 v[4:5], v[86:87], -0.5, v[4:5]
	;; [unrolled: 2-line block ×3, first 2 shown]
	v_add_f64 v[96:97], v[38:39], -v[44:45]
	s_waitcnt lgkmcnt(0)
	v_add_f64 v[38:39], v[24:25], v[38:39]
	v_add_f64 v[92:93], v[52:53], v[36:37]
	v_add_f64 v[36:37], v[36:37], -v[54:55]
	v_add_f64 v[94:95], v[94:95], v[189:190]
	v_add_f64 v[189:190], v[48:49], v[64:65]
	v_add_f64 v[64:65], v[64:65], -v[74:75]
	v_fma_f64 v[18:19], v[98:99], -0.5, v[18:19]
	v_add_f64 v[98:99], v[26:27], v[62:63]
	v_add_f64 v[62:63], v[62:63], -v[46:47]
	v_add_f64 v[193:194], v[193:194], -v[130:131]
	v_fma_f64 v[32:33], v[114:115], -0.5, v[32:33]
	v_add_f64 v[58:59], v[58:59], -v[72:73]
	v_add_f64 v[128:129], v[128:129], -v[197:198]
	v_fma_f64 v[34:35], v[118:119], -0.5, v[34:35]
	v_add_f64 v[172:173], v[172:173], -v[110:111]
	v_fma_f64 v[50:51], v[178:179], -0.5, v[50:51]
	;; [unrolled: 2-line block ×3, first 2 shown]
	v_fma_f64 v[14:15], v[174:175], -0.5, v[14:15]
	v_add_f64 v[90:91], v[90:91], -v[20:21]
	v_add_f64 v[40:41], v[40:41], -v[22:23]
	v_fma_f64 v[0:1], v[180:181], -0.5, v[0:1]
	v_add_f64 v[42:43], v[42:43], -v[70:71]
	v_fma_f64 v[52:53], v[182:183], -0.5, v[52:53]
	v_add_f64 v[66:67], v[68:69], v[66:67]
	v_fma_f64 v[24:25], v[78:79], -0.5, v[24:25]
	v_add_f64 v[102:103], v[102:103], v[191:192]
	v_add_f64 v[78:79], v[104:105], v[187:188]
	;; [unrolled: 1-line block ×3, first 2 shown]
	v_fma_f64 v[26:27], v[80:81], -0.5, v[26:27]
	v_add_f64 v[60:61], v[60:61], v[88:89]
	v_fma_f64 v[48:49], v[84:85], -0.5, v[48:49]
	v_fma_f64 v[88:89], v[2:3], s[2:3], v[28:29]
	v_add_f64 v[22:23], v[76:77], v[22:23]
	v_add_f64 v[76:77], v[82:83], v[185:186]
	;; [unrolled: 1-line block ×3, first 2 shown]
	v_fma_f64 v[86:87], v[2:3], s[6:7], v[28:29]
	v_add_f64 v[106:107], v[106:107], v[130:131]
	v_add_f64 v[72:73], v[38:39], v[44:45]
	v_fma_f64 v[38:39], v[100:101], s[2:3], v[8:9]
	v_fma_f64 v[8:9], v[100:101], s[6:7], v[8:9]
	v_add_f64 v[54:55], v[92:93], v[54:55]
	v_fma_f64 v[44:45], v[56:57], s[2:3], v[10:11]
	v_fma_f64 v[92:93], v[176:177], s[6:7], v[30:31]
	;; [unrolled: 1-line block ×8, first 2 shown]
	v_add_f64 v[112:113], v[112:113], v[197:198]
	v_fma_f64 v[80:81], v[58:59], s[2:3], v[6:7]
	v_fma_f64 v[104:105], v[128:129], s[6:7], v[34:35]
	;; [unrolled: 1-line block ×11, first 2 shown]
	v_add_f64 v[64:65], v[98:99], v[46:47]
	v_fma_f64 v[98:99], v[193:194], s[6:7], v[32:33]
	v_add_f64 v[110:111], v[124:125], v[110:111]
	v_add_f64 v[114:115], v[144:145], v[116:117]
	v_fma_f64 v[58:59], v[126:127], s[2:3], v[16:17]
	v_fma_f64 v[116:117], v[172:173], s[6:7], v[50:51]
	;; [unrolled: 1-line block ×6, first 2 shown]
	v_add_f64 v[20:21], v[195:196], v[20:21]
	v_fma_f64 v[122:123], v[90:91], s[6:7], v[24:25]
	v_fma_f64 v[90:91], v[90:91], s[2:3], v[24:25]
	;; [unrolled: 1-line block ×4, first 2 shown]
	v_add_f64 v[74:75], v[189:190], v[74:75]
	v_fma_f64 v[128:129], v[42:43], s[6:7], v[48:49]
	v_fma_f64 v[130:131], v[42:43], s[2:3], v[48:49]
	s_barrier
	buffer_gl0_inv
	ds_store_2addr_b64 v199, v[94:95], v[38:39] offset1:3
	ds_store_b64 v199, v[8:9] offset:48
	ds_store_2addr_b64 v200, v[102:103], v[44:45] offset1:3
	ds_store_b64 v200, v[10:11] offset:48
	;; [unrolled: 2-line block ×9, first 2 shown]
	s_waitcnt lgkmcnt(0)
	s_barrier
	buffer_gl0_inv
	ds_load_b64 v[132:133], v151 offset:13104
	ds_load_2addr_b64 v[16:19], v151 offset1:63
	ds_load_2addr_b64 v[0:3], v153 offset0:120 offset1:183
	ds_load_2addr_b64 v[48:51], v152 offset0:110 offset1:173
	;; [unrolled: 1-line block ×12, first 2 shown]
	s_waitcnt lgkmcnt(0)
	s_barrier
	buffer_gl0_inv
	ds_store_2addr_b64 v199, v[76:77], v[86:87] offset1:3
	ds_store_b64 v199, v[88:89] offset:48
	ds_store_2addr_b64 v200, v[78:79], v[92:93] offset1:3
	ds_store_b64 v200, v[96:97] offset:48
	;; [unrolled: 2-line block ×9, first 2 shown]
	s_waitcnt lgkmcnt(0)
	s_barrier
	buffer_gl0_inv
	global_load_b128 v[80:83], v206, s[4:5] offset:112
	v_lshrrev_b16 v144, 9, v202
	v_lshlrev_b32_e32 v52, 5, v143
	v_mul_lo_u16 v54, v171, 57
	v_mul_u32_u24_e32 v74, 0xe38f, v164
	v_mul_u32_u24_e32 v86, 0xe38f, v166
	v_mul_lo_u16 v53, v144, 9
	s_clause 0x1
	global_load_b128 v[60:63], v52, s[4:5] offset:112
	global_load_b128 v[56:59], v52, s[4:5] offset:96
	v_lshrrev_b16 v175, 9, v54
	v_lshrrev_b32_e32 v179, 19, v74
	v_sub_nc_u16 v53, v137, v53
	v_mul_u32_u24_e32 v87, 0xe38f, v167
	v_lshrrev_b32_e32 v184, 19, v86
	v_and_b32_e32 v208, 0xffff, v141
	v_and_b32_e32 v144, 0xffff, v144
	;; [unrolled: 1-line block ×3, first 2 shown]
	v_mul_lo_u16 v53, v175, 9
	v_lshrrev_b32_e32 v183, 19, v87
	v_mul_lo_u16 v89, v184, 9
	v_mul_u32_u24_e32 v209, 0xd8, v184
	v_lshlrev_b32_e32 v64, 5, v145
	v_sub_nc_u16 v65, v150, v53
	v_mul_lo_u16 v91, v183, 9
	v_sub_nc_u16 v89, v161, v89
	v_and_b32_e32 v175, 0xffff, v175
	s_clause 0x1
	global_load_b128 v[52:55], v64, s[4:5] offset:96
	global_load_b128 v[68:71], v64, s[4:5] offset:112
	v_and_b32_e32 v174, 0xff, v65
	v_mul_u32_u24_e32 v65, 0xe38f, v165
	v_and_b32_e32 v180, 0xffff, v89
	v_sub_nc_u16 v97, v163, v91
	v_mul_u32_u24_e32 v183, 0xd8, v183
	v_lshlrev_b32_e32 v72, 5, v174
	v_lshrrev_b32_e32 v177, 19, v65
	s_delay_alu instid0(VALU_DEP_4)
	v_and_b32_e32 v182, 0xffff, v97
	s_clause 0x1
	global_load_b128 v[64:67], v72, s[4:5] offset:112
	global_load_b128 v[76:79], v72, s[4:5] offset:96
	v_mul_lo_u16 v73, v177, 9
	v_lshlrev_b32_e32 v120, 5, v182
	v_mul_u32_u24_e32 v177, 0xd8, v177
	s_delay_alu instid0(VALU_DEP_3) | instskip(NEXT) | instid1(VALU_DEP_1)
	v_sub_nc_u16 v73, v148, v73
	v_and_b32_e32 v176, 0xffff, v73
	v_mul_lo_u16 v73, v179, 9
	v_mul_u32_u24_e32 v179, 0xd8, v179
	s_delay_alu instid0(VALU_DEP_3) | instskip(NEXT) | instid1(VALU_DEP_3)
	v_lshlrev_b32_e32 v84, 5, v176
	v_sub_nc_u16 v85, v149, v73
	s_clause 0x2
	global_load_b128 v[72:75], v84, s[4:5] offset:96
	global_load_b128 v[92:95], v84, s[4:5] offset:112
	;; [unrolled: 1-line block ×3, first 2 shown]
	v_and_b32_e32 v178, 0xffff, v85
	v_mul_u32_u24_e32 v85, 0xe38f, v168
	v_mul_lo_u16 v206, v170, 19
	s_delay_alu instid0(VALU_DEP_3) | instskip(NEXT) | instid1(VALU_DEP_3)
	v_lshlrev_b32_e32 v88, 5, v178
	v_lshrrev_b32_e32 v185, 19, v85
	global_load_b128 v[84:87], v88, s[4:5] offset:112
	v_mul_lo_u16 v90, v185, 9
	v_mul_u32_u24_e32 v210, 0xd8, v185
	s_delay_alu instid0(VALU_DEP_2) | instskip(SKIP_3) | instid1(VALU_DEP_2)
	v_sub_nc_u16 v96, v162, v90
	global_load_b128 v[88:91], v88, s[4:5] offset:96
	v_and_b32_e32 v181, 0xffff, v96
	v_lshlrev_b32_e32 v96, 5, v180
	v_lshlrev_b32_e32 v100, 5, v181
	s_clause 0x5
	global_load_b128 v[104:107], v96, s[4:5] offset:96
	global_load_b128 v[108:111], v96, s[4:5] offset:112
	;; [unrolled: 1-line block ×6, first 2 shown]
	ds_load_2addr_b64 v[186:189], v152 offset0:110 offset1:173
	ds_load_2addr_b64 v[128:131], v154 offset0:118 offset1:181
	ds_load_2addr_b64 v[124:127], v155 offset0:108 offset1:171
	ds_load_2addr_b64 v[190:193], v146 offset0:116 offset1:179
	s_waitcnt vmcnt(17) lgkmcnt(3)
	v_mul_f64 v[172:173], v[186:187], v[82:83]
	v_mul_f64 v[82:83], v[48:49], v[82:83]
	s_waitcnt vmcnt(16)
	v_mul_f64 v[194:195], v[188:189], v[62:63]
	v_mul_f64 v[62:63], v[50:51], v[62:63]
	s_waitcnt vmcnt(15) lgkmcnt(2)
	v_mul_f64 v[196:197], v[128:129], v[58:59]
	v_mul_f64 v[198:199], v[44:45], v[58:59]
	v_mul_lo_u16 v58, v134, 19
	s_waitcnt vmcnt(14)
	v_mul_f64 v[200:201], v[130:131], v[54:55]
	s_waitcnt vmcnt(13) lgkmcnt(1)
	v_mul_f64 v[202:203], v[124:125], v[70:71]
	v_mul_f64 v[54:55], v[46:47], v[54:55]
	;; [unrolled: 1-line block ×3, first 2 shown]
	v_fma_f64 v[204:205], v[48:49], v[80:81], -v[172:173]
	v_fma_f64 v[80:81], v[186:187], v[80:81], v[82:83]
	s_waitcnt vmcnt(12)
	v_mul_f64 v[82:83], v[126:127], v[66:67]
	v_mul_f64 v[66:67], v[42:43], v[66:67]
	v_mul_lo_u16 v48, v135, 19
	v_and_b32_e32 v49, 0xffff, v140
	v_lshrrev_b16 v172, 9, v58
	v_fma_f64 v[134:135], v[50:51], v[60:61], -v[194:195]
	v_fma_f64 v[62:63], v[188:189], v[60:61], v[62:63]
	v_lshrrev_b16 v173, 9, v48
	v_mul_u32_u24_e32 v207, 0xd8, v49
	ds_load_2addr_b64 v[48:51], v156 offset0:106 offset1:169
	ds_load_2addr_b64 v[58:61], v153 offset0:120 offset1:183
	s_waitcnt vmcnt(11) lgkmcnt(2)
	v_mul_f64 v[140:141], v[190:191], v[78:79]
	v_mul_f64 v[78:79], v[36:37], v[78:79]
	v_mul_lo_u16 v194, v172, 27
	v_fma_f64 v[186:187], v[44:45], v[56:57], -v[196:197]
	v_fma_f64 v[56:57], v[128:129], v[56:57], v[198:199]
	v_mul_lo_u16 v198, v173, 27
	v_mul_u32_u24_e32 v199, 0xd8, v208
	s_waitcnt vmcnt(10)
	v_mul_f64 v[128:129], v[192:193], v[74:75]
	v_mul_f64 v[74:75], v[38:39], v[74:75]
	v_fma_f64 v[184:185], v[46:47], v[52:53], -v[200:201]
	v_sub_nc_u16 v200, v136, v194
	ds_load_2addr_b64 v[44:47], v157 offset0:114 offset1:177
	v_fma_f64 v[196:197], v[40:41], v[68:69], -v[202:203]
	v_fma_f64 v[130:131], v[130:131], v[52:53], v[54:55]
	s_waitcnt vmcnt(8) lgkmcnt(1)
	v_mul_f64 v[194:195], v[60:61], v[118:119]
	v_mul_f64 v[118:119], v[2:3], v[118:119]
	ds_load_2addr_b64 v[52:55], v159 offset0:112 offset1:175
	v_mul_f64 v[188:189], v[48:49], v[94:95]
	v_fma_f64 v[68:69], v[124:125], v[68:69], v[70:71]
	s_waitcnt vmcnt(7)
	v_mul_f64 v[70:71], v[50:51], v[86:87]
	v_mul_f64 v[94:95], v[32:33], v[94:95]
	v_sub_nc_u16 v201, v169, v198
	v_fma_f64 v[82:83], v[42:43], v[64:65], -v[82:83]
	ds_load_2addr_b64 v[40:43], v147 offset0:104 offset1:167
	v_fma_f64 v[64:65], v[126:127], v[64:65], v[66:67]
	ds_load_b64 v[66:67], v151 offset:13104
	v_mul_u32_u24_e32 v126, 0xd8, v144
	v_lshlrev_b32_e32 v127, 3, v142
	v_lshlrev_b32_e32 v142, 3, v143
	;; [unrolled: 1-line block ×3, first 2 shown]
	v_mul_u32_u24_e32 v144, 0xd8, v175
	v_lshlrev_b32_e32 v145, 3, v174
	s_waitcnt vmcnt(6) lgkmcnt(3)
	v_mul_f64 v[124:125], v[44:45], v[90:91]
	v_add3_u32 v202, 0, v207, v127
	v_add3_u32 v207, 0, v126, v143
	s_waitcnt vmcnt(5)
	v_mul_f64 v[126:127], v[46:47], v[106:107]
	v_fma_f64 v[140:141], v[36:37], v[76:77], -v[140:141]
	v_fma_f64 v[76:77], v[190:191], v[76:77], v[78:79]
	v_add3_u32 v203, 0, v199, v142
	v_add3_u32 v208, 0, v144, v145
	s_waitcnt vmcnt(2) lgkmcnt(2)
	v_mul_f64 v[144:145], v[52:53], v[102:103]
	s_waitcnt vmcnt(1)
	v_mul_f64 v[190:191], v[54:55], v[114:115]
	v_fma_f64 v[128:129], v[38:39], v[72:73], -v[128:129]
	s_waitcnt lgkmcnt(1)
	v_mul_f64 v[78:79], v[40:41], v[110:111]
	v_mul_f64 v[142:143], v[42:43], v[98:99]
	s_waitcnt vmcnt(0) lgkmcnt(0)
	v_mul_f64 v[198:199], v[66:67], v[122:123]
	v_fma_f64 v[72:73], v[192:193], v[72:73], v[74:75]
	v_mul_f64 v[74:75], v[34:35], v[86:87]
	v_mul_f64 v[86:87], v[28:29], v[90:91]
	;; [unrolled: 1-line block ×4, first 2 shown]
	v_fma_f64 v[2:3], v[2:3], v[116:117], -v[194:195]
	v_mul_f64 v[98:99], v[26:27], v[98:99]
	v_mul_f64 v[102:103], v[20:21], v[102:103]
	v_fma_f64 v[60:61], v[60:61], v[116:117], v[118:119]
	v_mul_f64 v[114:115], v[22:23], v[114:115]
	v_mul_f64 v[116:117], v[132:133], v[122:123]
	v_fma_f64 v[110:111], v[32:33], v[92:93], -v[188:189]
	v_fma_f64 v[70:71], v[34:35], v[84:85], -v[70:71]
	v_fma_f64 v[48:49], v[48:49], v[92:93], v[94:95]
	v_lshlrev_b32_e32 v32, 3, v176
	v_lshlrev_b32_e32 v33, 3, v178
	;; [unrolled: 1-line block ×4, first 2 shown]
	v_and_b32_e32 v174, 0xff, v200
	v_add3_u32 v194, 0, v177, v32
	v_add3_u32 v200, 0, v179, v33
	;; [unrolled: 1-line block ×4, first 2 shown]
	ds_load_2addr_b64 v[32:35], v151 offset1:63
	v_fma_f64 v[118:119], v[28:29], v[88:89], -v[124:125]
	v_lshlrev_b32_e32 v36, 3, v182
	v_lshlrev_b32_e32 v195, 5, v174
	v_fma_f64 v[92:93], v[30:31], v[104:105], -v[126:127]
	ds_load_2addr_b64 v[28:31], v160 offset0:124 offset1:187
	v_add_f64 v[126:127], v[76:77], v[64:65]
	v_add3_u32 v211, 0, v183, v36
	ds_load_2addr_b64 v[36:39], v151 offset0:126 offset1:189
	v_fma_f64 v[20:21], v[20:21], v[100:101], -v[144:145]
	v_fma_f64 v[22:23], v[22:23], v[112:113], -v[190:191]
	;; [unrolled: 1-line block ×5, first 2 shown]
	ds_load_2addr_b64 v[24:27], v158 offset0:122 offset1:185
	v_fma_f64 v[50:51], v[50:51], v[84:85], v[74:75]
	v_fma_f64 v[44:45], v[44:45], v[88:89], v[86:87]
	;; [unrolled: 1-line block ×4, first 2 shown]
	v_add_f64 v[74:75], v[2:3], v[204:205]
	v_add_f64 v[84:85], v[186:187], v[134:135]
	v_fma_f64 v[42:43], v[42:43], v[96:97], v[98:99]
	v_fma_f64 v[52:53], v[52:53], v[100:101], v[102:103]
	v_add_f64 v[88:89], v[56:57], v[62:63]
	v_fma_f64 v[54:55], v[54:55], v[112:113], v[114:115]
	v_fma_f64 v[66:67], v[66:67], v[120:121], v[116:117]
	v_add_f64 v[86:87], v[60:61], v[80:81]
	v_add_f64 v[90:91], v[184:185], v[196:197]
	;; [unrolled: 1-line block ×8, first 2 shown]
	s_waitcnt lgkmcnt(3)
	v_add_f64 v[108:109], v[34:35], v[56:57]
	v_add_f64 v[100:101], v[60:61], -v[80:81]
	v_add_f64 v[60:61], v[32:33], v[60:61]
	v_add_f64 v[112:113], v[12:13], v[184:185]
	;; [unrolled: 1-line block ×4, first 2 shown]
	v_add_f64 v[2:3], v[2:3], -v[204:205]
	v_add_f64 v[56:57], v[56:57], -v[62:63]
	v_add_f64 v[114:115], v[130:131], -v[68:69]
	s_waitcnt lgkmcnt(1)
	v_add_f64 v[124:125], v[36:37], v[130:131]
	v_add_f64 v[130:131], v[38:39], v[76:77]
	v_add_f64 v[76:77], v[76:77], -v[64:65]
	v_add_f64 v[192:193], v[6:7], v[20:21]
	v_add_f64 v[175:176], v[10:11], v[118:119]
	;; [unrolled: 1-line block ×6, first 2 shown]
	v_add_f64 v[186:187], v[186:187], -v[134:135]
	v_add_f64 v[132:133], v[8:9], v[128:129]
	v_add_f64 v[188:189], v[44:45], v[50:51]
	v_add_f64 v[142:143], v[72:73], -v[48:49]
	v_add_f64 v[72:73], v[28:29], v[72:73]
	v_fma_f64 v[16:17], v[74:75], -0.5, v[16:17]
	v_add_f64 v[74:75], v[46:47], v[40:41]
	v_fma_f64 v[18:19], v[84:85], -0.5, v[18:19]
	;; [unrolled: 2-line block ×3, first 2 shown]
	v_add_f64 v[183:184], v[184:185], -v[196:197]
	v_add_f64 v[88:89], v[54:55], v[66:67]
	v_fma_f64 v[32:33], v[86:87], -0.5, v[32:33]
	v_add_f64 v[86:87], v[0:1], v[22:23]
	v_fma_f64 v[12:13], v[90:91], -0.5, v[12:13]
	v_fma_f64 v[14:15], v[96:97], -0.5, v[14:15]
	v_add_f64 v[90:91], v[30:31], v[44:45]
	v_add_f64 v[96:97], v[46:47], -v[40:41]
	s_waitcnt lgkmcnt(0)
	v_add_f64 v[46:47], v[24:25], v[46:47]
	v_add_f64 v[44:45], v[44:45], -v[50:51]
	v_fma_f64 v[8:9], v[104:105], -0.5, v[8:9]
	v_add_f64 v[104:105], v[26:27], v[52:53]
	v_add_f64 v[52:53], v[52:53], -v[42:43]
	v_fma_f64 v[36:37], v[120:121], -0.5, v[36:37]
	v_fma_f64 v[10:11], v[106:107], -0.5, v[10:11]
	v_add_f64 v[106:107], v[58:59], v[54:55]
	v_add_f64 v[54:55], v[54:55], -v[66:67]
	v_add_f64 v[140:141], v[140:141], -v[82:83]
	v_fma_f64 v[38:39], v[126:127], -0.5, v[38:39]
	v_add_f64 v[128:129], v[128:129], -v[110:111]
	v_fma_f64 v[28:29], v[179:180], -0.5, v[28:29]
	v_add_f64 v[118:119], v[118:119], -v[70:71]
	v_add_f64 v[92:93], v[92:93], -v[78:79]
	;; [unrolled: 1-line block ×4, first 2 shown]
	v_fma_f64 v[4:5], v[144:145], -0.5, v[4:5]
	v_fma_f64 v[6:7], v[177:178], -0.5, v[6:7]
	;; [unrolled: 1-line block ×3, first 2 shown]
	v_add_f64 v[98:99], v[98:99], v[204:205]
	v_add_f64 v[60:61], v[60:61], v[80:81]
	v_fma_f64 v[30:31], v[188:189], -0.5, v[30:31]
	v_add_f64 v[102:103], v[102:103], v[134:135]
	v_add_f64 v[62:63], v[108:109], v[62:63]
	;; [unrolled: 1-line block ×3, first 2 shown]
	v_fma_f64 v[24:25], v[74:75], -0.5, v[24:25]
	v_add_f64 v[74:75], v[192:193], v[94:95]
	v_fma_f64 v[26:27], v[84:85], -0.5, v[26:27]
	v_add_f64 v[68:69], v[124:125], v[68:69]
	v_add_f64 v[72:73], v[72:73], v[48:49]
	v_fma_f64 v[58:59], v[88:89], -0.5, v[58:59]
	v_fma_f64 v[94:95], v[2:3], s[2:3], v[32:33]
	v_add_f64 v[84:85], v[86:87], v[122:123]
	v_fma_f64 v[48:49], v[114:115], s[2:3], v[12:13]
	v_fma_f64 v[12:13], v[114:115], s[6:7], v[12:13]
	v_add_f64 v[80:81], v[90:91], v[50:51]
	v_fma_f64 v[90:91], v[2:3], s[6:7], v[32:33]
	v_add_f64 v[86:87], v[46:47], v[40:41]
	v_fma_f64 v[40:41], v[100:101], s[2:3], v[16:17]
	v_fma_f64 v[16:17], v[100:101], s[6:7], v[16:17]
	;; [unrolled: 1-line block ×9, first 2 shown]
	v_add_f64 v[66:67], v[106:107], v[66:67]
	v_fma_f64 v[106:107], v[183:184], s[2:3], v[36:37]
	v_add_f64 v[82:83], v[116:117], v[82:83]
	v_add_f64 v[64:65], v[130:131], v[64:65]
	v_fma_f64 v[108:109], v[140:141], s[6:7], v[38:39]
	v_fma_f64 v[114:115], v[140:141], s[2:3], v[38:39]
	v_add_f64 v[110:111], v[132:133], v[110:111]
	v_fma_f64 v[44:45], v[96:97], s[2:3], v[4:5]
	v_fma_f64 v[4:5], v[96:97], s[6:7], v[4:5]
	;; [unrolled: 1-line block ×7, first 2 shown]
	v_add_f64 v[54:55], v[104:105], v[42:43]
	v_fma_f64 v[104:105], v[183:184], s[6:7], v[36:37]
	v_fma_f64 v[56:57], v[142:143], s[2:3], v[8:9]
	;; [unrolled: 1-line block ×5, first 2 shown]
	v_add_f64 v[70:71], v[175:176], v[70:71]
	v_fma_f64 v[122:123], v[118:119], s[6:7], v[30:31]
	v_fma_f64 v[118:119], v[118:119], s[2:3], v[30:31]
	v_add_f64 v[78:79], v[190:191], v[78:79]
	v_fma_f64 v[124:125], v[92:93], s[6:7], v[24:25]
	v_fma_f64 v[92:93], v[92:93], s[2:3], v[24:25]
	;; [unrolled: 1-line block ×6, first 2 shown]
	v_and_b32_e32 v175, 0xff, v201
	s_barrier
	buffer_gl0_inv
	ds_store_2addr_b64 v202, v[98:99], v[40:41] offset1:9
	ds_store_b64 v202, v[16:17] offset:144
	ds_store_2addr_b64 v203, v[102:103], v[46:47] offset1:9
	ds_store_b64 v203, v[18:19] offset:144
	;; [unrolled: 2-line block ×9, first 2 shown]
	s_waitcnt lgkmcnt(0)
	s_barrier
	buffer_gl0_inv
	ds_load_b64 v[140:141], v151 offset:13104
	ds_load_2addr_b64 v[12:15], v151 offset1:63
	ds_load_2addr_b64 v[0:3], v153 offset0:120 offset1:183
	ds_load_2addr_b64 v[48:51], v152 offset0:110 offset1:173
	;; [unrolled: 1-line block ×12, first 2 shown]
	s_waitcnt lgkmcnt(0)
	s_barrier
	buffer_gl0_inv
	ds_store_2addr_b64 v202, v[60:61], v[90:91] offset1:9
	ds_store_b64 v202, v[94:95] offset:144
	ds_store_2addr_b64 v203, v[62:63], v[96:97] offset1:9
	ds_store_b64 v203, v[100:101] offset:144
	;; [unrolled: 2-line block ×9, first 2 shown]
	v_lshrrev_b16 v176, 9, v206
	v_lshlrev_b32_e32 v60, 5, v175
	s_waitcnt lgkmcnt(0)
	s_barrier
	buffer_gl0_inv
	global_load_b128 v[56:59], v195, s[4:5] offset:400
	v_mul_lo_u16 v61, v176, 27
	s_clause 0x1
	global_load_b128 v[52:55], v60, s[4:5] offset:400
	global_load_b128 v[68:71], v60, s[4:5] offset:384
	v_mul_u32_u24_e32 v62, 0x2f69, v165
	v_mul_lo_u16 v63, v171, 19
	v_sub_nc_u16 v61, v137, v61
	v_mul_u32_u24_e32 v66, 0x2f69, v164
	v_mul_u32_u24_e32 v77, 0x2f69, v166
	v_lshrrev_b32_e32 v64, 16, v62
	v_lshrrev_b16 v178, 9, v63
	v_and_b32_e32 v177, 0xff, v61
	v_lshrrev_b32_e32 v73, 16, v66
	v_mul_u32_u24_e32 v80, 0x2f69, v168
	v_sub_nc_u16 v67, v148, v64
	v_mul_lo_u16 v72, v178, 27
	v_lshlrev_b32_e32 v65, 5, v177
	v_sub_nc_u16 v74, v149, v73
	v_mul_u32_u24_e32 v81, 0x2f69, v167
	v_lshrrev_b16 v66, 1, v67
	v_sub_nc_u16 v72, v150, v72
	global_load_b128 v[60:63], v65, s[4:5] offset:384
	v_lshrrev_b32_e32 v77, 16, v77
	v_subrev_nc_u32_e32 v190, 18, v136
	v_add_nc_u16 v75, v66, v64
	v_and_b32_e32 v180, 0xff, v72
	v_lshrrev_b16 v72, 1, v74
	v_sub_nc_u16 v82, v161, v77
	v_lshlrev_b32_e32 v194, 1, v136
	v_lshrrev_b16 v179, 4, v75
	v_lshlrev_b32_e32 v76, 5, v180
	v_add_nc_u16 v78, v72, v73
	v_lshrrev_b16 v82, 1, v82
	v_cndmask_b32_e64 v169, v190, v169, s0
	v_mul_lo_u16 v79, v179, 27
	global_load_b128 v[116:119], v76, s[4:5] offset:384
	v_lshrrev_b16 v184, 4, v78
	s_clause 0x1
	global_load_b128 v[64:67], v65, s[4:5] offset:400
	global_load_b128 v[72:75], v76, s[4:5] offset:400
	v_sub_nc_u16 v78, v148, v79
	v_lshrrev_b32_e32 v79, 16, v80
	v_lshrrev_b32_e32 v80, 16, v81
	v_mul_lo_u16 v81, v184, 27
	v_add_nc_u16 v77, v82, v77
	v_and_b32_e32 v181, 0xffff, v78
	v_sub_nc_u16 v78, v162, v79
	v_sub_nc_u16 v83, v163, v80
	v_sub_nc_u16 v81, v149, v81
	v_lshrrev_b16 v187, 4, v77
	v_lshlrev_b32_e32 v76, 5, v181
	v_lshrrev_b16 v78, 1, v78
	v_mul_lo_u16 v204, 0xcb, v171
	v_and_b32_e32 v182, 0xffff, v81
	v_lshrrev_b16 v81, 1, v83
	global_load_b128 v[120:123], v76, s[4:5] offset:384
	v_add_nc_u16 v83, v78, v79
	v_and_b32_e32 v205, 0xffff, v173
	v_lshlrev_b32_e32 v82, 5, v182
	s_clause 0x2
	global_load_b128 v[84:87], v76, s[4:5] offset:400
	global_load_b128 v[76:79], v82, s[4:5] offset:400
	;; [unrolled: 1-line block ×3, first 2 shown]
	v_add_nc_u16 v80, v81, v80
	v_lshrrev_b16 v188, 4, v83
	v_mul_lo_u16 v81, v187, 27
	v_mov_b32_e32 v195, 0
	v_mul_u32_u24_e32 v205, 0x288, v205
	v_lshrrev_b16 v189, 4, v80
	v_mul_lo_u16 v88, v188, 27
	v_sub_nc_u16 v89, v161, v81
	global_load_b128 v[80:83], v82, s[4:5] offset:384
	v_lshlrev_b64 v[202:203], 4, v[194:195]
	v_mul_lo_u16 v90, v189, 27
	v_sub_nc_u16 v88, v162, v88
	v_and_b32_e32 v183, 0xffff, v89
	v_lshlrev_b32_e32 v194, 1, v169
	v_and_b32_e32 v176, 0xffff, v176
	v_sub_nc_u16 v89, v163, v90
	v_and_b32_e32 v185, 0xffff, v88
	v_lshlrev_b32_e32 v88, 5, v183
	s_clause 0x1
	global_load_b128 v[96:99], v88, s[4:5] offset:384
	global_load_b128 v[92:95], v88, s[4:5] offset:400
	v_and_b32_e32 v186, 0xffff, v89
	v_lshlrev_b32_e32 v89, 5, v185
	v_and_b32_e32 v178, 0xffff, v178
	v_mul_u32_u24_e32 v176, 0x288, v176
	v_lshlrev_b32_e32 v177, 3, v177
	v_lshlrev_b32_e32 v112, 5, v186
	s_clause 0x3
	global_load_b128 v[100:103], v89, s[4:5] offset:400
	global_load_b128 v[88:91], v89, s[4:5] offset:384
	;; [unrolled: 1-line block ×4, first 2 shown]
	ds_load_2addr_b64 v[132:135], v152 offset0:110 offset1:173
	ds_load_2addr_b64 v[128:131], v154 offset0:118 offset1:181
	;; [unrolled: 1-line block ×4, first 2 shown]
	v_mul_u32_u24_e32 v178, 0x288, v178
	v_lshlrev_b32_e32 v180, 3, v180
	v_and_b32_e32 v207, 0xffff, v189
	v_lshrrev_b16 v213, 14, v204
	s_delay_alu instid0(VALU_DEP_3)
	v_add3_u32 v206, 0, v178, v180
	v_and_b32_e32 v180, 0xffff, v187
	s_waitcnt vmcnt(17) lgkmcnt(3)
	v_mul_f64 v[142:143], v[132:133], v[58:59]
	v_mul_f64 v[144:145], v[48:49], v[58:59]
	s_waitcnt vmcnt(16)
	v_mul_f64 v[58:59], v[134:135], v[54:55]
	v_mul_f64 v[54:55], v[50:51], v[54:55]
	s_waitcnt vmcnt(15) lgkmcnt(2)
	v_mul_f64 v[196:197], v[128:129], v[70:71]
	v_mul_f64 v[198:199], v[44:45], v[70:71]
	v_mul_lo_u16 v70, 0xcb, v170
	v_and_b32_e32 v71, 0xffff, v172
	s_delay_alu instid0(VALU_DEP_2) | instskip(NEXT) | instid1(VALU_DEP_2)
	v_lshrrev_b16 v212, 14, v70
	v_mul_u32_u24_e32 v71, 0x288, v71
	s_waitcnt vmcnt(14)
	v_mul_f64 v[200:201], v[130:131], v[62:63]
	v_mul_f64 v[62:63], v[46:47], v[62:63]
	s_waitcnt vmcnt(12) lgkmcnt(1)
	v_mul_f64 v[170:171], v[124:125], v[66:67]
	v_fma_f64 v[142:143], v[48:49], v[56:57], -v[142:143]
	v_fma_f64 v[132:133], v[132:133], v[56:57], v[144:145]
	v_mul_f64 v[56:57], v[40:41], v[66:67]
	v_lshlrev_b64 v[66:67], 4, v[194:195]
	v_fma_f64 v[194:195], v[50:51], v[52:53], -v[58:59]
	v_fma_f64 v[134:135], v[134:135], v[52:53], v[54:55]
	ds_load_2addr_b64 v[48:51], v156 offset0:106 offset1:169
	ds_load_2addr_b64 v[52:55], v153 offset0:120 offset1:183
	s_waitcnt vmcnt(11)
	v_mul_f64 v[172:173], v[126:127], v[74:75]
	v_mul_f64 v[74:75], v[42:43], v[74:75]
	v_lshlrev_b32_e32 v58, 3, v174
	v_add_co_u32 v144, s0, s4, v202
	s_delay_alu instid0(VALU_DEP_1)
	v_add_co_ci_u32_e64 v145, s0, s5, v203, s0
	v_add_co_u32 v202, s0, s4, v66
	v_fma_f64 v[196:197], v[44:45], v[68:69], -v[196:197]
	v_fma_f64 v[68:69], v[128:129], v[68:69], v[198:199]
	v_add_co_ci_u32_e64 v203, s0, s5, v67, s0
	s_waitcnt lgkmcnt(2)
	v_mul_f64 v[66:67], v[190:191], v[118:119]
	v_fma_f64 v[128:129], v[46:47], v[60:61], -v[200:201]
	v_add3_u32 v200, 0, v71, v58
	v_lshlrev_b32_e32 v71, 3, v175
	v_mul_f64 v[118:119], v[36:37], v[118:119]
	s_waitcnt vmcnt(10)
	v_mul_f64 v[198:199], v[192:193], v[122:123]
	s_waitcnt vmcnt(7) lgkmcnt(0)
	v_mul_f64 v[174:175], v[54:55], v[110:111]
	v_mul_f64 v[122:123], v[38:39], v[122:123]
	;; [unrolled: 1-line block ×3, first 2 shown]
	ds_load_2addr_b64 v[44:47], v157 offset0:114 offset1:177
	v_add3_u32 v201, 0, v205, v71
	v_fma_f64 v[60:61], v[130:131], v[60:61], v[62:63]
	v_mul_f64 v[62:63], v[48:49], v[86:87]
	v_mul_f64 v[130:131], v[50:51], v[78:79]
	;; [unrolled: 1-line block ×4, first 2 shown]
	v_add3_u32 v205, 0, v176, v177
	v_fma_f64 v[170:171], v[40:41], v[64:65], -v[170:171]
	v_cmp_lt_u32_e64 s0, 17, v136
	v_fma_f64 v[64:65], v[124:125], v[64:65], v[56:57]
	ds_load_2addr_b64 v[56:59], v147 offset0:104 offset1:167
	v_fma_f64 v[124:125], v[42:43], v[72:73], -v[172:173]
	ds_load_2addr_b64 v[40:43], v159 offset0:112 offset1:175
	v_fma_f64 v[71:72], v[126:127], v[72:73], v[74:75]
	ds_load_b64 v[73:74], v151 offset:13104
	v_and_b32_e32 v126, 0xffff, v184
	s_waitcnt vmcnt(6) lgkmcnt(3)
	v_mul_f64 v[172:173], v[44:45], v[82:83]
	v_mul_f64 v[82:83], v[28:29], v[82:83]
	v_and_b32_e32 v184, 0xffff, v188
	v_and_b32_e32 v75, 0xffff, v179
	v_mul_u32_u24_e32 v208, 0x288, v126
	s_waitcnt vmcnt(5)
	v_mul_f64 v[126:127], v[46:47], v[98:99]
	v_mul_f64 v[98:99], v[30:31], v[98:99]
	v_fma_f64 v[66:67], v[36:37], v[116:117], -v[66:67]
	v_mul_u32_u24_e32 v75, 0x288, v75
	v_lshlrev_b32_e32 v37, 3, v186
	s_waitcnt vmcnt(4) lgkmcnt(2)
	v_mul_f64 v[176:177], v[56:57], v[94:95]
	v_mul_f64 v[94:95], v[24:25], v[94:95]
	v_fma_f64 v[116:117], v[190:191], v[116:117], v[118:119]
	v_fma_f64 v[2:3], v[2:3], v[108:109], -v[174:175]
	s_waitcnt vmcnt(3)
	v_mul_f64 v[118:119], v[58:59], v[102:103]
	s_waitcnt vmcnt(2) lgkmcnt(1)
	v_mul_f64 v[187:188], v[40:41], v[90:91]
	v_mul_f64 v[102:103], v[26:27], v[102:103]
	v_mul_f64 v[90:91], v[20:21], v[90:91]
	v_fma_f64 v[178:179], v[38:39], v[120:121], -v[198:199]
	s_waitcnt vmcnt(1)
	v_mul_f64 v[189:190], v[42:43], v[106:107]
	v_fma_f64 v[120:121], v[192:193], v[120:121], v[122:123]
	s_waitcnt vmcnt(0) lgkmcnt(0)
	v_mul_f64 v[122:123], v[73:74], v[114:115]
	v_fma_f64 v[54:55], v[54:55], v[108:109], v[110:111]
	v_mul_f64 v[106:107], v[22:23], v[106:107]
	v_mul_f64 v[108:109], v[140:141], v[114:115]
	v_fma_f64 v[62:63], v[32:33], v[84:85], -v[62:63]
	v_fma_f64 v[130:131], v[34:35], v[76:77], -v[130:131]
	v_lshlrev_b32_e32 v35, 3, v181
	v_fma_f64 v[48:49], v[48:49], v[84:85], v[86:87]
	v_fma_f64 v[50:51], v[50:51], v[76:77], v[78:79]
	v_add_f64 v[77:78], v[196:197], v[194:195]
	v_mul_u32_u24_e32 v32, 0x288, v180
	v_add3_u32 v198, 0, v75, v35
	v_mul_u32_u24_e32 v33, 0x288, v184
	v_mul_u32_u24_e32 v34, 0x288, v207
	v_lshlrev_b32_e32 v36, 3, v185
	v_fma_f64 v[110:111], v[28:29], v[80:81], -v[172:173]
	v_fma_f64 v[44:45], v[44:45], v[80:81], v[82:83]
	v_add_f64 v[79:80], v[128:129], v[170:171]
	v_lshlrev_b32_e32 v28, 3, v182
	v_lshlrev_b32_e32 v29, 3, v183
	v_fma_f64 v[84:85], v[30:31], v[96:97], -v[126:127]
	v_fma_f64 v[46:47], v[46:47], v[96:97], v[98:99]
	v_add_f64 v[96:97], v[14:15], v[196:197]
	v_add_f64 v[81:82], v[66:67], v[124:125]
	v_add3_u32 v199, 0, v208, v28
	v_add3_u32 v207, 0, v32, v29
	v_fma_f64 v[86:87], v[24:25], v[92:93], -v[176:177]
	v_fma_f64 v[56:57], v[56:57], v[92:93], v[94:95]
	v_add3_u32 v208, 0, v33, v36
	v_add_f64 v[75:76], v[2:3], v[142:143]
	v_fma_f64 v[114:115], v[26:27], v[100:101], -v[118:119]
	v_fma_f64 v[20:21], v[20:21], v[88:89], -v[187:188]
	v_fma_f64 v[58:59], v[58:59], v[100:101], v[102:103]
	v_fma_f64 v[40:41], v[40:41], v[88:89], v[90:91]
	v_add_f64 v[100:101], v[68:69], v[134:135]
	v_fma_f64 v[22:23], v[22:23], v[104:105], -v[189:190]
	v_add_f64 v[88:89], v[12:13], v[2:3]
	v_fma_f64 v[118:119], v[140:141], v[112:113], -v[122:123]
	v_add_f64 v[98:99], v[54:55], v[132:133]
	v_fma_f64 v[42:43], v[42:43], v[104:105], v[106:107]
	v_fma_f64 v[73:74], v[73:74], v[112:113], v[108:109]
	v_add_f64 v[90:91], v[178:179], v[62:63]
	v_add_f64 v[112:113], v[60:61], v[64:65]
	;; [unrolled: 1-line block ×5, first 2 shown]
	v_fma_f64 v[14:15], v[77:78], -0.5, v[14:15]
	v_add3_u32 v209, 0, v34, v37
	ds_load_2addr_b64 v[32:35], v151 offset1:63
	ds_load_2addr_b64 v[36:39], v151 offset0:126 offset1:189
	ds_load_2addr_b64 v[24:27], v158 offset0:122 offset1:185
	;; [unrolled: 1-line block ×3, first 2 shown]
	v_add_f64 v[94:95], v[54:55], -v[132:133]
	v_add_f64 v[92:93], v[110:111], v[130:131]
	v_add_f64 v[186:187], v[44:45], v[50:51]
	v_fma_f64 v[16:17], v[79:80], -0.5, v[16:17]
	v_add_f64 v[106:107], v[60:61], -v[64:65]
	v_add_f64 v[108:109], v[18:19], v[66:67]
	v_add_f64 v[140:141], v[8:9], v[178:179]
	v_add_f64 v[2:3], v[2:3], -v[142:143]
	v_add_f64 v[196:197], v[196:197], -v[194:195]
	v_fma_f64 v[18:19], v[81:82], -0.5, v[18:19]
	v_add_f64 v[128:129], v[128:129], -v[170:171]
	v_add_f64 v[172:173], v[120:121], -v[48:49]
	v_add_f64 v[174:175], v[84:85], v[86:87]
	v_add_f64 v[66:67], v[66:67], -v[124:125]
	v_add_f64 v[178:179], v[178:179], -v[62:63]
	v_fma_f64 v[12:13], v[75:76], -0.5, v[12:13]
	v_add_f64 v[75:76], v[46:47], v[56:57]
	v_add_f64 v[180:181], v[20:21], v[114:115]
	s_waitcnt lgkmcnt(3)
	v_add_f64 v[54:55], v[32:33], v[54:55]
	v_add_f64 v[77:78], v[40:41], v[58:59]
	s_waitcnt lgkmcnt(2)
	v_add_f64 v[60:61], v[36:37], v[60:61]
	v_add_f64 v[81:82], v[0:1], v[22:23]
	v_add_f64 v[102:103], v[34:35], v[68:69]
	v_add_f64 v[184:185], v[22:23], v[118:119]
	v_fma_f64 v[32:33], v[98:99], -0.5, v[32:33]
	v_add_f64 v[68:69], v[68:69], -v[134:135]
	v_add_f64 v[79:80], v[42:43], v[73:74]
	v_fma_f64 v[8:9], v[90:91], -0.5, v[8:9]
	v_add_f64 v[90:91], v[46:47], -v[56:57]
	s_waitcnt lgkmcnt(1)
	v_add_f64 v[46:47], v[24:25], v[46:47]
	v_fma_f64 v[34:35], v[100:101], -0.5, v[34:35]
	v_add_f64 v[192:193], v[6:7], v[20:21]
	v_add_f64 v[126:127], v[38:39], v[116:117]
	v_add_f64 v[116:117], v[116:117], -v[71:72]
	v_fma_f64 v[36:37], v[112:113], -0.5, v[36:37]
	s_waitcnt lgkmcnt(0)
	v_add_f64 v[120:121], v[28:29], v[120:121]
	v_fma_f64 v[38:39], v[122:123], -0.5, v[38:39]
	v_fma_f64 v[28:29], v[182:183], -0.5, v[28:29]
	v_add_f64 v[176:177], v[10:11], v[110:111]
	v_add_f64 v[188:189], v[30:31], v[44:45]
	v_add_f64 v[44:45], v[44:45], -v[50:51]
	v_fma_f64 v[10:11], v[92:93], -0.5, v[10:11]
	v_add_f64 v[110:111], v[110:111], -v[130:131]
	v_fma_f64 v[30:31], v[186:187], -0.5, v[30:31]
	v_add_f64 v[190:191], v[4:5], v[84:85]
	v_add_f64 v[83:84], v[84:85], -v[86:87]
	v_add_f64 v[92:93], v[26:27], v[40:41]
	v_add_f64 v[40:41], v[40:41], -v[58:59]
	v_add_f64 v[20:21], v[20:21], -v[114:115]
	v_add_f64 v[88:89], v[88:89], v[142:143]
	v_fma_f64 v[4:5], v[174:175], -0.5, v[4:5]
	v_add_f64 v[142:143], v[52:53], v[42:43]
	v_add_f64 v[42:43], v[42:43], -v[73:74]
	v_add_f64 v[22:23], v[22:23], -v[118:119]
	v_fma_f64 v[24:25], v[75:76], -0.5, v[24:25]
	v_fma_f64 v[6:7], v[180:181], -0.5, v[6:7]
	v_add_f64 v[54:55], v[54:55], v[132:133]
	v_fma_f64 v[26:27], v[77:78], -0.5, v[26:27]
	v_add_f64 v[64:65], v[60:61], v[64:65]
	v_add_f64 v[77:78], v[81:82], v[118:119]
	v_fma_f64 v[60:61], v[106:107], s[2:3], v[16:17]
	v_fma_f64 v[0:1], v[184:185], -0.5, v[0:1]
	v_fma_f64 v[16:17], v[106:107], s[6:7], v[16:17]
	v_fma_f64 v[106:107], v[2:3], s[6:7], v[32:33]
	v_fma_f64 v[52:53], v[79:80], -0.5, v[52:53]
	v_add_f64 v[100:101], v[108:109], v[124:125]
	v_fma_f64 v[108:109], v[2:3], s[2:3], v[32:33]
	v_add_f64 v[81:82], v[46:47], v[56:57]
	v_fma_f64 v[46:47], v[94:95], s[2:3], v[12:13]
	v_fma_f64 v[12:13], v[94:95], s[6:7], v[12:13]
	v_add_f64 v[96:97], v[96:97], v[194:195]
	v_add_f64 v[79:80], v[102:103], v[134:135]
	v_fma_f64 v[56:57], v[68:69], s[2:3], v[14:15]
	v_fma_f64 v[112:113], v[196:197], s[6:7], v[34:35]
	v_add_f64 v[75:76], v[192:193], v[114:115]
	v_fma_f64 v[14:15], v[68:69], s[6:7], v[14:15]
	v_fma_f64 v[114:115], v[196:197], s[2:3], v[34:35]
	;; [unrolled: 3-line block ×3, first 2 shown]
	v_fma_f64 v[116:117], v[128:129], s[6:7], v[36:37]
	v_fma_f64 v[118:119], v[128:129], s[2:3], v[36:37]
	v_add_f64 v[71:72], v[126:127], v[71:72]
	v_add_f64 v[48:49], v[120:121], v[48:49]
	v_fma_f64 v[120:121], v[66:67], s[6:7], v[38:39]
	v_fma_f64 v[66:67], v[66:67], s[2:3], v[38:39]
	v_add_f64 v[62:63], v[140:141], v[62:63]
	v_fma_f64 v[94:95], v[172:173], s[2:3], v[8:9]
	v_fma_f64 v[122:123], v[178:179], s[6:7], v[28:29]
	;; [unrolled: 1-line block ×4, first 2 shown]
	v_add_f64 v[104:105], v[176:177], v[130:131]
	v_add_f64 v[50:51], v[188:189], v[50:51]
	v_fma_f64 v[102:103], v[44:45], s[2:3], v[10:11]
	v_fma_f64 v[126:127], v[110:111], s[6:7], v[30:31]
	;; [unrolled: 1-line block ×4, first 2 shown]
	v_add_f64 v[85:86], v[190:191], v[86:87]
	v_fma_f64 v[44:45], v[90:91], s[2:3], v[4:5]
	v_fma_f64 v[128:129], v[83:84], s[6:7], v[24:25]
	;; [unrolled: 1-line block ×5, first 2 shown]
	v_add_f64 v[92:93], v[92:93], v[58:59]
	v_fma_f64 v[130:131], v[20:21], s[6:7], v[26:27]
	v_fma_f64 v[6:7], v[40:41], s[6:7], v[6:7]
	;; [unrolled: 1-line block ×4, first 2 shown]
	v_add_f64 v[73:74], v[142:143], v[73:74]
	v_fma_f64 v[132:133], v[22:23], s[6:7], v[52:53]
	v_fma_f64 v[0:1], v[42:43], s[6:7], v[0:1]
	v_fma_f64 v[22:23], v[22:23], s[2:3], v[52:53]
	s_barrier
	buffer_gl0_inv
	ds_store_2addr_b64 v200, v[88:89], v[46:47] offset1:27
	ds_store_b64 v200, v[12:13] offset:432
	ds_store_2addr_b64 v201, v[96:97], v[56:57] offset1:27
	ds_store_b64 v201, v[14:15] offset:432
	;; [unrolled: 2-line block ×9, first 2 shown]
	s_waitcnt lgkmcnt(0)
	s_barrier
	buffer_gl0_inv
	ds_load_b64 v[210:211], v151 offset:13104
	ds_load_2addr_b64 v[12:15], v151 offset1:63
	ds_load_2addr_b64 v[0:3], v153 offset0:120 offset1:183
	ds_load_2addr_b64 v[24:27], v152 offset0:110 offset1:173
	;; [unrolled: 1-line block ×12, first 2 shown]
	s_waitcnt lgkmcnt(0)
	s_barrier
	buffer_gl0_inv
	ds_store_2addr_b64 v200, v[54:55], v[106:107] offset1:27
	ds_store_b64 v200, v[108:109] offset:432
	ds_store_2addr_b64 v201, v[79:80], v[112:113] offset1:27
	ds_store_b64 v201, v[114:115] offset:432
	;; [unrolled: 2-line block ×9, first 2 shown]
	s_waitcnt lgkmcnt(0)
	s_barrier
	buffer_gl0_inv
	s_clause 0x3
	global_load_b128 v[48:51], v[144:145], off offset:1264
	global_load_b128 v[72:75], v[144:145], off offset:1248
	;; [unrolled: 1-line block ×4, first 2 shown]
	v_mul_u32_u24_e32 v20, 0x6523, v165
	v_mul_u32_u24_e32 v22, 0x6523, v166
	;; [unrolled: 1-line block ×5, first 2 shown]
	v_lshrrev_b32_e32 v20, 21, v20
	v_lshrrev_b32_e32 v215, 21, v22
	v_mul_lo_u16 v22, 0x51, v212
	v_lshrrev_b32_e32 v216, 21, v23
	v_mul_lo_u16 v23, 0x51, v213
	v_mul_lo_u16 v20, 0x51, v20
	v_lshrrev_b32_e32 v214, 21, v21
	v_sub_nc_u16 v22, v137, v22
	v_lshrrev_b32_e32 v21, 21, v52
	v_sub_nc_u16 v23, v150, v23
	v_sub_nc_u16 v20, v148, v20
	v_mul_lo_u16 v52, 0x51, v214
	v_and_b32_e32 v217, 0xff, v22
	v_mul_lo_u16 v53, 0x51, v215
	v_mul_lo_u16 v54, 0x51, v216
	v_and_b32_e32 v219, 0xffff, v20
	v_and_b32_e32 v218, 0xff, v23
	v_mul_lo_u16 v21, 0x51, v21
	v_sub_nc_u16 v22, v149, v52
	v_lshlrev_b32_e32 v52, 5, v217
	v_lshlrev_b32_e32 v20, 5, v219
	v_sub_nc_u16 v23, v161, v53
	v_sub_nc_u16 v53, v162, v54
	v_lshlrev_b32_e32 v54, 5, v218
	v_and_b32_e32 v220, 0xffff, v22
	s_clause 0x2
	global_load_b128 v[76:79], v52, s[4:5] offset:1248
	global_load_b128 v[110:113], v52, s[4:5] offset:1264
	;; [unrolled: 1-line block ×3, first 2 shown]
	v_sub_nc_u16 v21, v163, v21
	s_clause 0x1
	global_load_b128 v[128:131], v20, s[4:5] offset:1248
	global_load_b128 v[132:135], v20, s[4:5] offset:1264
	v_and_b32_e32 v221, 0xffff, v23
	v_and_b32_e32 v222, 0xffff, v53
	v_lshlrev_b32_e32 v22, 5, v220
	v_and_b32_e32 v223, 0xffff, v21
	global_load_b128 v[118:121], v54, s[4:5] offset:1248
	v_lshlrev_b32_e32 v20, 5, v221
	v_lshlrev_b32_e32 v21, 5, v222
	s_clause 0x3
	global_load_b128 v[140:143], v22, s[4:5] offset:1264
	global_load_b128 v[161:164], v22, s[4:5] offset:1248
	global_load_b128 v[165:168], v20, s[4:5] offset:1248
	global_load_b128 v[170:173], v20, s[4:5] offset:1264
	v_lshlrev_b32_e32 v20, 5, v223
	s_clause 0x3
	global_load_b128 v[174:177], v21, s[4:5] offset:1264
	global_load_b128 v[178:181], v21, s[4:5] offset:1248
	;; [unrolled: 1-line block ×4, first 2 shown]
	ds_load_2addr_b64 v[80:83], v152 offset0:110 offset1:173
	ds_load_2addr_b64 v[122:125], v154 offset0:118 offset1:181
	;; [unrolled: 1-line block ×9, first 2 shown]
	s_waitcnt vmcnt(17) lgkmcnt(8)
	v_mul_f64 v[52:53], v[80:81], v[50:51]
	v_mul_f64 v[50:51], v[24:25], v[50:51]
	s_waitcnt vmcnt(15)
	v_mul_f64 v[84:85], v[82:83], v[66:67]
	v_mul_f64 v[66:67], v[26:27], v[66:67]
	s_waitcnt vmcnt(14) lgkmcnt(7)
	v_mul_f64 v[86:87], v[122:123], v[70:71]
	v_mul_f64 v[70:71], v[28:29], v[70:71]
	s_waitcnt lgkmcnt(6)
	v_mul_f64 v[88:89], v[22:23], v[74:75]
	v_mul_f64 v[74:75], v[2:3], v[74:75]
	s_waitcnt vmcnt(13)
	v_mul_f64 v[90:91], v[124:125], v[78:79]
	s_waitcnt vmcnt(12) lgkmcnt(5)
	v_mul_f64 v[92:93], v[190:191], v[112:113]
	s_waitcnt vmcnt(11)
	v_mul_f64 v[94:95], v[192:193], v[116:117]
	v_fma_f64 v[54:55], v[24:25], v[48:49], -v[52:53]
	ds_load_b64 v[24:25], v151 offset:13104
	v_fma_f64 v[52:53], v[26:27], v[64:65], -v[84:85]
	s_waitcnt vmcnt(10) lgkmcnt(5)
	v_mul_f64 v[26:27], v[196:197], v[130:131]
	s_waitcnt vmcnt(9) lgkmcnt(4)
	v_mul_f64 v[100:101], v[198:199], v[134:135]
	s_waitcnt vmcnt(8)
	v_mul_f64 v[98:99], v[194:195], v[120:121]
	v_fma_f64 v[48:49], v[80:81], v[48:49], v[50:51]
	v_fma_f64 v[50:51], v[82:83], v[64:65], v[66:67]
	s_waitcnt vmcnt(7)
	v_mul_f64 v[64:65], v[200:201], v[142:143]
	s_waitcnt vmcnt(6) lgkmcnt(3)
	v_mul_f64 v[66:67], v[202:203], v[163:164]
	s_waitcnt vmcnt(5)
	v_mul_f64 v[104:105], v[204:205], v[167:168]
	v_fma_f64 v[80:81], v[28:29], v[68:69], -v[86:87]
	s_waitcnt vmcnt(3) lgkmcnt(2)
	v_mul_f64 v[28:29], v[146:147], v[176:177]
	v_mul_f64 v[106:107], v[144:145], v[172:173]
	v_fma_f64 v[86:87], v[122:123], v[68:69], v[70:71]
	s_waitcnt vmcnt(2) lgkmcnt(1)
	v_mul_f64 v[68:69], v[206:207], v[180:181]
	v_fma_f64 v[96:97], v[2:3], v[72:73], -v[88:89]
	s_waitcnt vmcnt(1)
	v_mul_f64 v[2:3], v[208:209], v[184:185]
	v_fma_f64 v[102:103], v[22:23], v[72:73], v[74:75]
	v_mul_f64 v[72:73], v[32:33], v[112:113]
	s_waitcnt vmcnt(0) lgkmcnt(0)
	v_mul_f64 v[70:71], v[24:25], v[188:189]
	v_fma_f64 v[22:23], v[30:31], v[76:77], -v[90:91]
	v_mul_f64 v[30:31], v[30:31], v[78:79]
	v_fma_f64 v[84:85], v[32:33], v[110:111], -v[92:93]
	;; [unrolled: 2-line block ×6, first 2 shown]
	v_fma_f64 v[92:93], v[42:43], v[140:141], -v[64:65]
	v_mul_f64 v[38:39], v[42:43], v[142:143]
	v_mul_f64 v[40:41], v[44:45], v[163:164]
	v_fma_f64 v[100:101], v[44:45], v[161:162], -v[66:67]
	v_fma_f64 v[98:99], v[46:47], v[165:166], -v[104:105]
	;; [unrolled: 1-line block ×3, first 2 shown]
	v_mul_f64 v[28:29], v[58:59], v[176:177]
	v_mul_f64 v[42:43], v[46:47], v[167:168]
	;; [unrolled: 1-line block ×3, first 2 shown]
	v_fma_f64 v[106:107], v[56:57], v[170:171], -v[106:107]
	v_mul_f64 v[46:47], v[60:61], v[180:181]
	v_fma_f64 v[116:117], v[60:61], v[178:179], -v[68:69]
	v_fma_f64 v[108:109], v[62:63], v[182:183], -v[2:3]
	v_mul_f64 v[2:3], v[62:63], v[184:185]
	v_mul_f64 v[56:57], v[210:211], v[188:189]
	v_fma_f64 v[122:123], v[210:211], v[186:187], -v[70:71]
	v_fma_f64 v[110:111], v[190:191], v[110:111], v[72:73]
	v_cndmask_b32_e64 v72, 0, 0x798, s0
	v_lshlrev_b32_e32 v73, 3, v169
	v_lshlrev_b32_e32 v168, 3, v217
	v_mul_u32_u24_e32 v164, 0x798, v214
	v_lshl_add_u32 v163, v219, 3, 0
	v_cmp_gt_u32_e64 s0, 54, v136
	v_fma_f64 v[124:125], v[124:125], v[76:77], v[30:31]
	v_add_f64 v[30:31], v[80:81], v[52:53]
	v_fma_f64 v[114:115], v[192:193], v[114:115], v[32:33]
	v_add_f64 v[32:33], v[22:23], v[84:85]
	;; [unrolled: 2-line block ×4, first 2 shown]
	v_add_f64 v[34:35], v[90:91], v[82:83]
	v_fma_f64 v[120:121], v[198:199], v[132:133], v[36:37]
	v_add_f64 v[36:37], v[88:89], v[94:95]
	v_fma_f64 v[130:131], v[200:201], v[140:141], v[38:39]
	v_fma_f64 v[132:133], v[202:203], v[161:162], v[40:41]
	v_add_f64 v[40:41], v[12:13], v[96:97]
	v_add_f64 v[60:61], v[10:11], v[100:101]
	;; [unrolled: 1-line block ×3, first 2 shown]
	v_fma_f64 v[140:141], v[146:147], v[174:175], v[28:29]
	v_add_f64 v[28:29], v[100:101], v[92:93]
	v_fma_f64 v[142:143], v[204:205], v[165:166], v[42:43]
	v_fma_f64 v[134:135], v[144:145], v[170:171], v[44:45]
	v_add_f64 v[38:39], v[98:99], v[106:107]
	v_fma_f64 v[146:147], v[206:207], v[178:179], v[46:47]
	v_add_f64 v[42:43], v[102:103], -v[48:49]
	v_fma_f64 v[148:149], v[208:209], v[182:183], v[2:3]
	v_add_f64 v[2:3], v[116:117], v[104:105]
	v_fma_f64 v[144:145], v[24:25], v[186:187], v[56:57]
	v_add_f64 v[24:25], v[108:109], v[122:123]
	v_add_f64 v[64:65], v[6:7], v[116:117]
	v_add_f64 v[66:67], v[0:1], v[108:109]
	v_add_f64 v[44:45], v[14:15], v[80:81]
	v_add_f64 v[46:47], v[16:17], v[22:23]
	v_add_f64 v[56:57], v[18:19], v[90:91]
	v_add3_u32 v161, 0, v72, v73
	v_mul_u32_u24_e32 v165, 0x798, v215
	v_mul_u32_u24_e32 v170, 0x798, v216
	v_lshl_add_u32 v162, v223, 3, 0
	v_fma_f64 v[14:15], v[30:31], -0.5, v[14:15]
	v_add_f64 v[30:31], v[124:125], -v[110:111]
	v_fma_f64 v[16:17], v[32:33], -0.5, v[16:17]
	v_add_f64 v[32:33], v[126:127], -v[114:115]
	v_add_f64 v[58:59], v[58:59], v[94:95]
	v_fma_f64 v[12:13], v[26:27], -0.5, v[12:13]
	v_add_f64 v[26:27], v[86:87], -v[50:51]
	v_fma_f64 v[18:19], v[34:35], -0.5, v[18:19]
	v_add_f64 v[34:35], v[128:129], -v[120:121]
	;; [unrolled: 2-line block ×3, first 2 shown]
	v_add_f64 v[72:73], v[40:41], v[54:55]
	v_add_f64 v[60:61], v[60:61], v[92:93]
	;; [unrolled: 1-line block ×3, first 2 shown]
	v_fma_f64 v[10:11], v[28:29], -0.5, v[10:11]
	v_add_f64 v[28:29], v[142:143], -v[134:135]
	v_fma_f64 v[4:5], v[38:39], -0.5, v[4:5]
	v_add_f64 v[38:39], v[146:147], -v[140:141]
	;; [unrolled: 2-line block ×3, first 2 shown]
	v_fma_f64 v[24:25], v[24:25], -0.5, v[0:1]
	v_and_b32_e32 v0, 0xffff, v212
	v_and_b32_e32 v1, 0xffff, v213
	v_add_f64 v[6:7], v[66:67], v[122:123]
	v_add_f64 v[74:75], v[44:45], v[52:53]
	v_add_f64 v[76:77], v[46:47], v[84:85]
	v_mul_u32_u24_e32 v166, 0x798, v0
	v_mul_u32_u24_e32 v167, 0x798, v1
	v_add_f64 v[0:1], v[64:65], v[104:105]
	v_add_f64 v[56:57], v[56:57], v[82:83]
	s_delay_alu instid0(VALU_DEP_4)
	v_add3_u32 v169, 0, v166, v168
	v_add_nc_u32_e32 v168, 0x1400, v163
	v_fma_f64 v[112:113], v[30:31], s[2:3], v[16:17]
	v_fma_f64 v[30:31], v[30:31], s[6:7], v[16:17]
	;; [unrolled: 1-line block ×10, first 2 shown]
	v_lshlrev_b32_e32 v12, 3, v218
	v_lshlrev_b32_e32 v13, 3, v220
	v_fma_f64 v[173:174], v[36:37], s[2:3], v[10:11]
	v_fma_f64 v[36:37], v[36:37], s[6:7], v[10:11]
	v_lshlrev_b32_e32 v14, 3, v221
	v_fma_f64 v[175:176], v[28:29], s[2:3], v[4:5]
	v_fma_f64 v[28:29], v[28:29], s[6:7], v[4:5]
	v_lshlrev_b32_e32 v15, 3, v222
	v_add3_u32 v167, 0, v167, v12
	v_fma_f64 v[2:3], v[38:39], s[2:3], v[68:69]
	v_fma_f64 v[4:5], v[38:39], s[6:7], v[68:69]
	;; [unrolled: 1-line block ×4, first 2 shown]
	v_add3_u32 v166, 0, v164, v13
	v_add3_u32 v165, 0, v165, v14
	v_add3_u32 v164, 0, v170, v15
	v_add_nc_u32_e32 v170, 0x2c00, v162
	ds_load_2addr_b64 v[16:19], v160 offset0:124 offset1:187
	ds_load_2addr_b64 v[44:47], v151 offset1:63
	ds_load_2addr_b64 v[40:43], v151 offset0:126 offset1:189
	ds_load_2addr_b64 v[12:15], v158 offset0:122 offset1:185
	s_waitcnt lgkmcnt(0)
	s_barrier
	buffer_gl0_inv
	ds_store_2addr_b64 v151, v[72:73], v[64:65] offset1:81
	ds_store_b64 v151, v[66:67] offset:1296
	ds_store_2addr_b64 v161, v[74:75], v[78:79] offset1:81
	ds_store_b64 v161, v[26:27] offset:1296
	ds_store_2addr_b64 v169, v[76:77], v[112:113] offset1:81
	ds_store_b64 v169, v[30:31] offset:1296
	ds_store_2addr_b64 v167, v[56:57], v[118:119] offset1:81
	ds_store_b64 v167, v[32:33] offset:1296
	ds_store_2addr_b64 v168, v[58:59], v[171:172] offset0:89 offset1:170
	ds_store_b64 v163, v[34:35] offset:7128
	ds_store_2addr_b64 v166, v[60:61], v[173:174] offset1:81
	ds_store_b64 v166, v[36:37] offset:1296
	ds_store_2addr_b64 v165, v[62:63], v[175:176] offset1:81
	;; [unrolled: 2-line block ×3, first 2 shown]
	ds_store_b64 v164, v[4:5] offset:1296
	ds_store_2addr_b64 v170, v[6:7], v[8:9] offset0:50 offset1:131
	ds_store_b64 v162, v[10:11] offset:12960
	s_waitcnt lgkmcnt(0)
	s_barrier
	buffer_gl0_inv
	ds_load_b64 v[118:119], v151 offset:12672
	ds_load_2addr_b64 v[24:27], v151 offset1:63
	ds_load_2addr_b64 v[28:31], v151 offset0:126 offset1:243
	ds_load_2addr_b64 v[60:63], v153 offset0:102 offset1:165
	;; [unrolled: 1-line block ×9, first 2 shown]
                                        ; implicit-def: $vgpr112_vgpr113
	s_and_saveexec_b32 s1, s0
	s_cbranch_execz .LBB0_13
; %bb.12:
	v_add_nc_u32_e32 v0, 0x5c0, v151
	v_add_nc_u32_e32 v4, 0x1500, v151
	ds_load_2addr_b64 v[8:11], v155 offset0:9 offset1:252
	ds_load_2addr_b64 v[0:3], v0 offset0:5 offset1:248
	;; [unrolled: 1-line block ×3, first 2 shown]
	ds_load_b64 v[112:113], v151 offset:13176
.LBB0_13:
	s_or_b32 exec_lo, exec_lo, s1
	v_add_f64 v[171:172], v[102:103], v[48:49]
	v_add_f64 v[173:174], v[86:87], v[50:51]
	;; [unrolled: 1-line block ×10, first 2 shown]
	v_add_f64 v[54:55], v[96:97], -v[54:55]
	v_add_f64 v[86:87], v[46:47], v[86:87]
	v_add_f64 v[96:97], v[40:41], v[124:125]
	v_add_f64 v[52:53], v[80:81], -v[52:53]
	v_add_f64 v[22:23], v[22:23], -v[84:85]
	v_add_f64 v[124:125], v[42:43], v[126:127]
	v_add_f64 v[80:81], v[90:91], -v[82:83]
	v_add_f64 v[126:127], v[16:17], v[128:129]
	;; [unrolled: 2-line block ×6, first 2 shown]
	v_add_f64 v[100:101], v[108:109], -v[122:123]
	s_waitcnt lgkmcnt(0)
	s_barrier
	buffer_gl0_inv
	v_fma_f64 v[44:45], v[171:172], -0.5, v[44:45]
	v_fma_f64 v[46:47], v[173:174], -0.5, v[46:47]
	;; [unrolled: 1-line block ×9, first 2 shown]
	v_add_f64 v[48:49], v[102:103], v[48:49]
	v_add_f64 v[50:51], v[86:87], v[50:51]
	;; [unrolled: 1-line block ×9, first 2 shown]
	v_fma_f64 v[110:111], v[54:55], s[6:7], v[44:45]
	v_fma_f64 v[44:45], v[54:55], s[2:3], v[44:45]
	;; [unrolled: 1-line block ×18, first 2 shown]
	ds_store_2addr_b64 v151, v[48:49], v[110:111] offset1:81
	ds_store_b64 v151, v[44:45] offset:1296
	ds_store_2addr_b64 v161, v[50:51], v[54:55] offset1:81
	ds_store_b64 v161, v[46:47] offset:1296
	;; [unrolled: 2-line block ×4, first 2 shown]
	ds_store_2addr_b64 v168, v[102:103], v[80:81] offset0:89 offset1:170
	ds_store_b64 v163, v[82:83] offset:7128
	ds_store_2addr_b64 v166, v[106:107], v[116:117] offset1:81
	ds_store_b64 v166, v[84:85] offset:1296
	ds_store_2addr_b64 v165, v[108:109], v[88:89] offset1:81
	;; [unrolled: 2-line block ×3, first 2 shown]
	ds_store_b64 v164, v[16:17] offset:1296
	ds_store_2addr_b64 v170, v[18:19], v[20:21] offset0:50 offset1:131
	ds_store_b64 v162, v[22:23] offset:12960
	s_waitcnt lgkmcnt(0)
	s_barrier
	buffer_gl0_inv
	ds_load_2addr_b64 v[40:43], v151 offset1:63
	ds_load_2addr_b64 v[44:47], v151 offset0:126 offset1:243
	ds_load_2addr_b64 v[84:87], v153 offset0:102 offset1:165
	;; [unrolled: 1-line block ×9, first 2 shown]
	ds_load_b64 v[120:121], v151 offset:12672
                                        ; implicit-def: $vgpr114_vgpr115
	s_and_saveexec_b32 s1, s0
	s_cbranch_execz .LBB0_15
; %bb.14:
	v_add_nc_u32_e32 v12, 0x5c0, v151
	v_add_nc_u32_e32 v16, 0x1500, v151
	;; [unrolled: 1-line block ×3, first 2 shown]
	ds_load_2addr_b64 v[12:15], v12 offset0:5 offset1:248
	ds_load_2addr_b64 v[16:19], v16 offset0:3 offset1:246
	;; [unrolled: 1-line block ×3, first 2 shown]
	ds_load_b64 v[114:115], v151 offset:13176
.LBB0_15:
	s_or_b32 exec_lo, exec_lo, s1
	s_and_saveexec_b32 s1, vcc_lo
	s_cbranch_execz .LBB0_18
; %bb.16:
	v_mul_u32_u24_e32 v104, 6, v137
	v_mad_u32_u24 v116, v137, 6, 0xfffffe86
	s_mov_b32 s12, 0xe976ee23
	s_mov_b32 s16, 0x37e14327
	;; [unrolled: 1-line block ×3, first 2 shown]
	v_dual_mov_b32 v117, 0 :: v_dual_lshlrev_b32 v106, 4, v104
	v_mul_u32_u24_e32 v104, 6, v136
	s_mov_b32 s24, 0x429ad128
	s_mov_b32 s13, 0xbfe11646
	global_load_b128 v[122:125], v106, s[4:5] offset:3920
	s_mov_b32 s17, 0x3fe948f6
	v_lshlrev_b32_e32 v107, 4, v104
	v_lshlrev_b64 v[104:105], 4, v[116:117]
	v_mul_hi_u32 v116, 0x86d90545, v137
	s_clause 0x6
	global_load_b128 v[126:129], v107, s[4:5] offset:3904
	global_load_b128 v[130:133], v106, s[4:5] offset:3840
	;; [unrolled: 1-line block ×7, first 2 shown]
	v_add_co_u32 v108, vcc_lo, s4, v104
	v_add_co_ci_u32_e32 v109, vcc_lo, s5, v105, vcc_lo
	s_clause 0x9
	global_load_b128 v[163:166], v106, s[4:5] offset:3888
	global_load_b128 v[167:170], v106, s[4:5] offset:3872
	global_load_b128 v[171:174], v[108:109], off offset:3840
	global_load_b128 v[175:178], v[108:109], off offset:3920
	;; [unrolled: 1-line block ×4, first 2 shown]
	global_load_b128 v[187:190], v107, s[4:5] offset:3888
	global_load_b128 v[191:194], v107, s[4:5] offset:3872
	global_load_b128 v[104:107], v[108:109], off offset:3888
	global_load_b128 v[108:111], v[108:109], off offset:3872
	v_add_co_u32 v213, vcc_lo, s8, v138
	v_add_co_ci_u32_e32 v214, vcc_lo, s9, v139, vcc_lo
	v_mov_b32_e32 v137, v117
	s_mov_b32 s15, 0x3fac98ee
	s_mov_b32 s25, 0x3febfeb5
	s_mov_b32 s6, 0xb247c609
	s_mov_b32 s10, 0xaaaaaaaa
	s_mov_b32 s20, 0x5476071b
	s_mov_b32 s7, 0x3fd5d0dc
	s_mov_b32 s11, 0xbff2aaaa
	s_mov_b32 s23, 0xbfd5d0dc
	s_mov_b32 s21, 0xbfe77f67
	s_mov_b32 s19, 0x3fe77f67
	s_mov_b32 s22, s6
	s_mov_b32 s18, s20
	s_mov_b32 s2, 0x37c3f68c
	s_mov_b32 s3, 0x3fdc38aa
	v_lshrrev_b32_e32 v116, 7, v116
	s_delay_alu instid0(VALU_DEP_1)
	v_mul_u32_u24_e32 v116, 0x5b2, v116
	s_waitcnt vmcnt(17) lgkmcnt(0)
	v_mul_f64 v[134:135], v[120:121], v[124:125]
	v_mul_f64 v[124:125], v[118:119], v[124:125]
	s_waitcnt vmcnt(16)
	v_mul_f64 v[148:149], v[102:103], v[128:129]
	v_mul_f64 v[128:129], v[78:79], v[128:129]
	s_waitcnt vmcnt(15)
	;; [unrolled: 3-line block ×6, first 2 shown]
	v_mul_f64 v[201:202], v[30:31], v[157:158]
	s_waitcnt vmcnt(10)
	v_mul_f64 v[203:204], v[60:61], v[161:162]
	v_mul_f64 v[157:158], v[46:47], v[157:158]
	;; [unrolled: 1-line block ×3, first 2 shown]
	s_waitcnt vmcnt(7)
	v_mul_f64 v[209:210], v[88:89], v[173:174]
	s_waitcnt vmcnt(6)
	v_mul_f64 v[211:212], v[94:95], v[177:178]
	v_mul_f64 v[177:178], v[70:71], v[177:178]
	;; [unrolled: 1-line block ×7, first 2 shown]
	v_fma_f64 v[118:119], v[118:119], v[122:123], -v[134:135]
	s_waitcnt vmcnt(5)
	v_mul_f64 v[134:135], v[64:65], v[181:182]
	v_fma_f64 v[120:121], v[120:121], v[122:123], v[124:125]
	s_waitcnt vmcnt(4)
	v_mul_f64 v[122:123], v[62:63], v[185:186]
	v_mul_f64 v[124:125], v[86:87], v[185:186]
	;; [unrolled: 1-line block ×3, first 2 shown]
	v_fma_f64 v[78:79], v[78:79], v[126:127], -v[148:149]
	v_fma_f64 v[102:103], v[102:103], v[126:127], v[128:129]
	s_waitcnt vmcnt(3)
	v_mul_f64 v[126:127], v[48:49], v[189:190]
	s_waitcnt vmcnt(2)
	v_mul_f64 v[128:129], v[82:83], v[193:194]
	v_fma_f64 v[74:75], v[74:75], v[130:131], -v[195:196]
	v_fma_f64 v[90:91], v[90:91], v[130:131], v[132:133]
	v_mul_f64 v[130:131], v[58:59], v[193:194]
	v_mul_f64 v[132:133], v[32:33], v[189:190]
	v_fma_f64 v[66:67], v[66:67], v[140:141], -v[197:198]
	v_fma_f64 v[98:99], v[98:99], v[140:141], v[142:143]
	v_lshlrev_b64 v[140:141], 4, v[136:137]
	s_waitcnt vmcnt(1)
	v_mul_f64 v[142:143], v[50:51], v[106:107]
	v_fma_f64 v[80:81], v[80:81], v[144:145], v[138:139]
	v_fma_f64 v[56:57], v[56:57], v[144:145], -v[146:147]
	s_waitcnt vmcnt(0)
	v_mul_f64 v[137:138], v[52:53], v[110:111]
	v_fma_f64 v[68:69], v[68:69], v[151:152], -v[199:200]
	v_fma_f64 v[92:93], v[92:93], v[151:152], v[153:154]
	v_fma_f64 v[144:145], v[46:47], v[155:156], v[201:202]
	;; [unrolled: 1-line block ×3, first 2 shown]
	v_fma_f64 v[146:147], v[30:31], v[155:156], -v[157:158]
	v_fma_f64 v[60:61], v[60:61], v[159:160], -v[161:162]
	v_mul_f64 v[110:111], v[36:37], v[110:111]
	v_mul_f64 v[106:107], v[34:35], v[106:107]
	v_fma_f64 v[72:73], v[72:73], v[171:172], -v[209:210]
	v_fma_f64 v[70:71], v[70:71], v[175:176], -v[211:212]
	v_fma_f64 v[94:95], v[94:95], v[175:176], v[177:178]
	v_fma_f64 v[88:89], v[88:89], v[171:172], v[173:174]
	v_add_co_u32 v30, vcc_lo, v213, v140
	v_fma_f64 v[76:77], v[76:77], v[163:164], -v[205:206]
	v_fma_f64 v[100:101], v[100:101], v[163:164], v[165:166]
	v_fma_f64 v[38:39], v[38:39], v[167:168], -v[207:208]
	v_fma_f64 v[54:55], v[54:55], v[167:168], v[169:170]
	v_fma_f64 v[96:97], v[96:97], v[179:180], v[134:135]
	v_add_co_ci_u32_e32 v31, vcc_lo, v214, v141, vcc_lo
	v_fma_f64 v[86:87], v[86:87], v[183:184], v[122:123]
	v_fma_f64 v[62:63], v[62:63], v[183:184], -v[124:125]
	v_fma_f64 v[64:65], v[64:65], v[179:180], -v[181:182]
	v_lshlrev_b64 v[46:47], 4, v[116:117]
	v_fma_f64 v[122:123], v[32:33], v[187:188], -v[126:127]
	v_fma_f64 v[58:59], v[58:59], v[191:192], -v[128:129]
	v_add_f64 v[128:129], v[74:75], v[118:119]
	v_add_f64 v[124:125], v[90:91], v[120:121]
	v_fma_f64 v[82:83], v[82:83], v[191:192], v[130:131]
	v_fma_f64 v[48:49], v[48:49], v[187:188], v[132:133]
	v_add_f64 v[74:75], v[74:75], -v[118:119]
	v_add_f64 v[90:91], v[90:91], -v[120:121]
	v_add_co_u32 v32, vcc_lo, 0x1000, v30
	v_add_f64 v[126:127], v[80:81], v[98:99]
	v_add_f64 v[130:131], v[56:57], v[66:67]
	v_fma_f64 v[132:133], v[34:35], v[104:105], -v[142:143]
	v_fma_f64 v[134:135], v[36:37], v[108:109], -v[137:138]
	v_add_f64 v[56:57], v[56:57], -v[66:67]
	v_add_f64 v[137:138], v[144:145], v[92:93]
	v_add_f64 v[139:140], v[84:85], v[102:103]
	;; [unrolled: 1-line block ×4, first 2 shown]
	v_fma_f64 v[52:53], v[52:53], v[108:109], v[110:111]
	v_fma_f64 v[50:51], v[50:51], v[104:105], v[106:107]
	v_add_f64 v[80:81], v[80:81], -v[98:99]
	v_add_f64 v[110:111], v[72:73], v[70:71]
	v_add_f64 v[68:69], v[146:147], -v[68:69]
	v_add_f64 v[106:107], v[88:89], v[94:95]
	v_add_f64 v[60:61], v[60:61], -v[78:79]
	v_add_f64 v[70:71], v[72:73], -v[70:71]
	;; [unrolled: 1-line block ×3, first 2 shown]
	v_add_co_ci_u32_e32 v33, vcc_lo, 0, v31, vcc_lo
	v_add_f64 v[104:105], v[76:77], -v[38:39]
	v_add_f64 v[66:67], v[100:101], v[54:55]
	v_add_f64 v[76:77], v[76:77], v[38:39]
	v_add_f64 v[54:55], v[100:101], -v[54:55]
	v_add_f64 v[108:109], v[86:87], v[96:97]
	v_add_co_u32 v34, vcc_lo, 0x2000, v30
	v_add_f64 v[118:119], v[62:63], v[64:65]
	v_add_f64 v[62:63], v[62:63], -v[64:65]
	v_add_f64 v[98:99], v[122:123], -v[58:59]
	v_add_f64 v[58:59], v[122:123], v[58:59]
	v_add_co_ci_u32_e32 v35, vcc_lo, 0, v31, vcc_lo
	v_add_f64 v[78:79], v[48:49], v[82:83]
	v_add_f64 v[48:49], v[48:49], -v[82:83]
	v_add_f64 v[82:83], v[84:85], -v[102:103]
	;; [unrolled: 1-line block ×3, first 2 shown]
	v_add_co_u32 v36, vcc_lo, 0x3000, v30
	v_add_f64 v[92:93], v[124:125], v[126:127]
	v_add_f64 v[100:101], v[128:129], v[130:131]
	v_add_f64 v[72:73], v[132:133], -v[134:135]
	v_add_f64 v[122:123], v[132:133], v[134:135]
	v_add_co_ci_u32_e32 v37, vcc_lo, 0, v31, vcc_lo
	v_add_f64 v[102:103], v[137:138], v[139:140]
	v_add_f64 v[120:121], v[141:142], v[148:149]
	v_add_co_u32 v38, vcc_lo, 0x4000, v30
	v_add_f64 v[64:65], v[50:51], v[52:53]
	v_add_f64 v[50:51], v[50:51], -v[52:53]
	v_add_f64 v[52:53], v[86:87], -v[96:97]
	v_add_co_ci_u32_e32 v39, vcc_lo, 0, v31, vcc_lo
	v_add_f64 v[86:87], v[74:75], -v[104:105]
	v_add_f64 v[94:95], v[104:105], -v[56:57]
	v_add_f64 v[96:97], v[104:105], v[56:57]
	v_add_f64 v[104:105], v[124:125], -v[66:67]
	v_add_f64 v[143:144], v[106:107], v[108:109]
	v_add_f64 v[132:133], v[66:67], -v[126:127]
	v_add_f64 v[134:135], v[128:129], -v[76:77]
	v_add_f64 v[145:146], v[110:111], v[118:119]
	v_add_f64 v[151:152], v[76:77], -v[130:131]
	v_add_f64 v[153:154], v[90:91], -v[54:55]
	;; [unrolled: 1-line block ×3, first 2 shown]
	v_add_f64 v[157:158], v[54:55], v[80:81]
	v_add_f64 v[56:57], v[56:57], -v[74:75]
	v_add_f64 v[124:125], v[126:127], -v[124:125]
	;; [unrolled: 1-line block ×5, first 2 shown]
	v_add_f64 v[98:99], v[98:99], v[60:61]
	v_add_f64 v[130:131], v[48:49], -v[82:83]
	v_add_f64 v[60:61], v[60:61], -v[68:69]
	;; [unrolled: 1-line block ×4, first 2 shown]
	v_add_f64 v[66:67], v[66:67], v[92:93]
	v_add_f64 v[76:77], v[76:77], v[100:101]
	v_add_f64 v[92:93], v[137:138], -v[78:79]
	v_add_f64 v[100:101], v[141:142], -v[58:59]
	v_add_f64 v[78:79], v[78:79], v[102:103]
	v_add_f64 v[58:59], v[58:59], v[120:121]
	v_add_f64 v[80:81], v[80:81], -v[90:91]
	v_add_f64 v[159:160], v[82:83], -v[84:85]
	v_add_f64 v[82:83], v[48:49], v[82:83]
	v_add_f64 v[120:121], v[139:140], -v[137:138]
	v_add_f64 v[137:138], v[148:149], -v[141:142]
	;; [unrolled: 1-line block ×9, first 2 shown]
	v_add_f64 v[62:63], v[72:73], v[62:63]
	v_add_f64 v[72:73], v[106:107], -v[64:65]
	v_add_f64 v[173:174], v[110:111], -v[122:123]
	v_add_f64 v[64:65], v[64:65], v[143:144]
	v_add_f64 v[102:103], v[84:85], -v[48:49]
	v_add_f64 v[122:123], v[122:123], v[145:146]
	;; [unrolled: 2-line block ×3, first 2 shown]
	v_mul_f64 v[94:95], v[94:95], s[12:13]
	v_mul_f64 v[132:133], v[132:133], s[14:15]
	;; [unrolled: 1-line block ×4, first 2 shown]
	v_add_f64 v[106:107], v[108:109], -v[106:107]
	v_add_f64 v[108:109], v[118:119], -v[110:111]
	v_mul_f64 v[110:111], v[54:55], s[12:13]
	v_mul_f64 v[151:152], v[151:152], s[14:15]
	v_mul_f64 v[118:119], v[130:131], s[12:13]
	v_mul_f64 v[130:131], v[60:61], s[24:25]
	v_mul_f64 v[161:162], v[161:162], s[14:15]
	v_mul_f64 v[163:164], v[163:164], s[14:15]
	v_add_f64 v[50:51], v[44:45], v[66:67]
	v_mul_f64 v[155:156], v[155:156], s[12:13]
	v_add_f64 v[48:49], v[28:29], v[76:77]
	v_mul_f64 v[44:45], v[92:93], s[16:17]
	v_add_f64 v[54:55], v[40:41], v[78:79]
	v_add_f64 v[52:53], v[24:25], v[58:59]
	v_mul_f64 v[181:182], v[100:101], s[16:17]
	v_mul_f64 v[40:41], v[80:81], s[24:25]
	v_add_f64 v[74:75], v[74:75], v[96:97]
	v_add_f64 v[68:69], v[68:69], v[98:99]
	v_add_f64 v[82:83], v[84:85], v[82:83]
	v_mul_f64 v[84:85], v[139:140], s[12:13]
	v_mul_f64 v[96:97], v[141:142], s[14:15]
	;; [unrolled: 1-line block ×6, first 2 shown]
	v_add_f64 v[90:91], v[90:91], v[157:158]
	v_mul_f64 v[141:142], v[167:168], s[24:25]
	v_mul_f64 v[157:158], v[72:73], s[16:17]
	;; [unrolled: 1-line block ×3, first 2 shown]
	v_add_f64 v[28:29], v[42:43], v[64:65]
	v_mul_f64 v[24:25], v[134:135], s[16:17]
	v_add_f64 v[26:27], v[26:27], v[122:123]
	v_add_f64 v[42:43], v[70:71], v[62:63]
	;; [unrolled: 1-line block ×3, first 2 shown]
	v_fma_f64 v[70:71], v[86:87], s[6:7], v[94:95]
	v_fma_f64 v[88:89], v[104:105], s[16:17], v[132:133]
	v_fma_f64 v[86:87], v[86:87], s[22:23], -v[175:176]
	v_fma_f64 v[145:146], v[124:125], s[20:21], -v[177:178]
	;; [unrolled: 1-line block ×4, first 2 shown]
	v_fma_f64 v[94:95], v[128:129], s[6:7], v[110:111]
	v_fma_f64 v[60:61], v[60:61], s[24:25], -v[110:111]
	v_fma_f64 v[132:133], v[102:103], s[6:7], v[118:119]
	v_fma_f64 v[128:129], v[128:129], s[22:23], -v[130:131]
	v_fma_f64 v[92:93], v[92:93], s[16:17], v[161:162]
	v_fma_f64 v[100:101], v[100:101], s[16:17], v[163:164]
	v_fma_f64 v[66:67], v[66:67], s[10:11], v[50:51]
	v_fma_f64 v[104:105], v[134:135], s[16:17], v[151:152]
	v_fma_f64 v[134:135], v[153:154], s[6:7], v[155:156]
	v_fma_f64 v[110:111], v[159:160], s[24:25], -v[118:119]
	v_fma_f64 v[78:79], v[78:79], s[10:11], v[54:55]
	v_fma_f64 v[58:59], v[58:59], s[10:11], v[52:53]
	v_fma_f64 v[44:45], v[120:121], s[20:21], -v[44:45]
	v_fma_f64 v[118:119], v[137:138], s[20:21], -v[181:182]
	;; [unrolled: 1-line block ×5, first 2 shown]
	v_fma_f64 v[153:154], v[171:172], s[6:7], v[84:85]
	v_fma_f64 v[72:73], v[72:73], s[16:17], v[96:97]
	;; [unrolled: 1-line block ×4, first 2 shown]
	v_fma_f64 v[102:103], v[102:103], s[22:23], -v[179:180]
	v_fma_f64 v[143:144], v[143:144], s[22:23], -v[147:148]
	v_fma_f64 v[76:77], v[76:77], s[10:11], v[48:49]
	v_fma_f64 v[141:142], v[171:172], s[22:23], -v[141:142]
	v_fma_f64 v[147:148], v[106:107], s[20:21], -v[157:158]
	;; [unrolled: 1-line block ×3, first 2 shown]
	v_fma_f64 v[64:65], v[64:65], s[10:11], v[28:29]
	v_fma_f64 v[84:85], v[167:168], s[24:25], -v[84:85]
	v_fma_f64 v[122:123], v[122:123], s[10:11], v[26:27]
	v_fma_f64 v[139:140], v[169:170], s[24:25], -v[139:140]
	v_fma_f64 v[96:97], v[106:107], s[18:19], -v[96:97]
	v_fma_f64 v[98:99], v[108:109], s[18:19], -v[98:99]
	v_fma_f64 v[137:138], v[126:127], s[20:21], -v[24:25]
	v_fma_f64 v[106:107], v[126:127], s[18:19], -v[151:152]
	v_fma_f64 v[80:81], v[80:81], s[24:25], -v[155:156]
	v_fma_f64 v[108:109], v[74:75], s[2:3], v[70:71]
	v_fma_f64 v[70:71], v[74:75], s[2:3], v[86:87]
	;; [unrolled: 1-line block ×7, first 2 shown]
	v_add_co_u32 v24, vcc_lo, 0x5000, v30
	v_add_f64 v[128:129], v[88:89], v[66:67]
	v_add_f64 v[68:69], v[145:146], v[66:67]
	;; [unrolled: 1-line block ×5, first 2 shown]
	v_fma_f64 v[126:127], v[90:91], s[2:3], v[134:135]
	v_add_f64 v[100:101], v[118:119], v[58:59]
	v_add_f64 v[44:45], v[44:45], v[78:79]
	;; [unrolled: 1-line block ×3, first 2 shown]
	v_fma_f64 v[110:111], v[82:83], s[2:3], v[110:111]
	v_fma_f64 v[124:125], v[42:43], s[2:3], v[153:154]
	;; [unrolled: 1-line block ×3, first 2 shown]
	v_add_co_ci_u32_e32 v25, vcc_lo, 0, v31, vcc_lo
	v_fma_f64 v[130:131], v[62:63], s[2:3], v[161:162]
	v_fma_f64 v[134:135], v[62:63], s[2:3], v[143:144]
	;; [unrolled: 1-line block ×3, first 2 shown]
	v_add_f64 v[82:83], v[120:121], v[78:79]
	v_fma_f64 v[120:121], v[42:43], s[2:3], v[141:142]
	v_add_f64 v[104:105], v[104:105], v[76:77]
	v_add_f64 v[143:144], v[72:73], v[64:65]
	;; [unrolled: 1-line block ×5, first 2 shown]
	v_fma_f64 v[141:142], v[42:43], s[2:3], v[84:85]
	v_fma_f64 v[139:140], v[62:63], s[2:3], v[139:140]
	v_add_f64 v[64:65], v[96:97], v[64:65]
	v_add_f64 v[122:123], v[98:99], v[122:123]
	;; [unrolled: 1-line block ×3, first 2 shown]
	v_fma_f64 v[157:158], v[90:91], s[2:3], v[80:81]
	v_add_f64 v[159:160], v[106:107], v[76:77]
	v_add_co_u32 v153, vcc_lo, v30, v46
	v_add_co_ci_u32_e32 v154, vcc_lo, v31, v47, vcc_lo
	s_delay_alu instid0(VALU_DEP_2)
	v_add_co_u32 v161, vcc_lo, 0x7e0, v153
	v_add_f64 v[42:43], v[108:109], v[128:129]
	v_add_f64 v[46:47], v[70:71], v[68:69]
	v_add_f64 v[58:59], v[66:67], -v[56:57]
	v_add_f64 v[62:63], v[56:57], v[66:67]
	v_add_f64 v[66:67], v[68:69], -v[70:71]
	;; [unrolled: 2-line block ×3, first 2 shown]
	v_add_f64 v[88:89], v[132:133], v[92:93]
	v_add_f64 v[74:75], v[86:87], v[44:45]
	v_add_f64 v[86:87], v[44:45], -v[86:87]
	v_add_f64 v[80:81], v[118:119], -v[110:111]
	;; [unrolled: 1-line block ×3, first 2 shown]
	v_add_f64 v[76:77], v[110:111], v[118:119]
	v_add_f64 v[94:95], v[128:129], -v[108:109]
	v_add_co_ci_u32_e32 v162, vcc_lo, 0, v154, vcc_lo
	v_add_f64 v[84:85], v[102:103], v[100:101]
	v_add_f64 v[72:73], v[100:101], -v[102:103]
	v_add_f64 v[78:79], v[82:83], -v[60:61]
	v_add_f64 v[82:83], v[60:61], v[82:83]
	v_add_f64 v[98:99], v[143:144], -v[124:125]
	v_add_f64 v[102:103], v[147:148], -v[120:121]
	v_add_f64 v[96:97], v[130:131], v[145:146]
	v_add_f64 v[100:101], v[134:135], v[151:152]
	v_add_f64 v[40:41], v[104:105], -v[126:127]
	v_add_f64 v[92:93], v[126:127], v[104:105]
	v_add_f64 v[106:107], v[141:142], v[64:65]
	v_add_f64 v[104:105], v[122:123], -v[139:140]
	v_add_f64 v[110:111], v[64:65], -v[141:142]
	v_add_f64 v[108:109], v[139:140], v[122:123]
	v_add_f64 v[120:121], v[120:121], v[147:148]
	v_add_f64 v[118:119], v[151:152], -v[134:135]
	v_add_f64 v[124:125], v[124:125], v[143:144]
	v_add_f64 v[122:123], v[145:146], -v[130:131]
	;; [unrolled: 2-line block ×4, first 2 shown]
	v_add_co_u32 v126, vcc_lo, 0x2000, v153
	v_add_co_ci_u32_e32 v127, vcc_lo, 0, v154, vcc_lo
	v_add_co_u32 v128, vcc_lo, 0x3000, v153
	v_add_co_ci_u32_e32 v129, vcc_lo, 0, v154, vcc_lo
	;; [unrolled: 2-line block ×5, first 2 shown]
	s_clause 0x14
	global_store_b128 v[30:31], v[52:55], off
	global_store_b128 v[30:31], v[26:29], off offset:1008
	global_store_b128 v[30:31], v[88:91], off offset:3888
	;; [unrolled: 1-line block ×20, first 2 shown]
	s_and_b32 exec_lo, exec_lo, s0
	s_cbranch_execz .LBB0_18
; %bb.17:
	v_subrev_nc_u32_e32 v26, 54, v136
	s_delay_alu instid0(VALU_DEP_1) | instskip(NEXT) | instid1(VALU_DEP_1)
	v_cndmask_b32_e64 v26, v26, v150, s0
	v_mul_i32_i24_e32 v116, 6, v26
	s_delay_alu instid0(VALU_DEP_1) | instskip(NEXT) | instid1(VALU_DEP_1)
	v_lshlrev_b64 v[26:27], 4, v[116:117]
	v_add_co_u32 v56, vcc_lo, s4, v26
	s_delay_alu instid0(VALU_DEP_2)
	v_add_co_ci_u32_e32 v57, vcc_lo, s5, v27, vcc_lo
	s_clause 0x5
	global_load_b128 v[26:29], v[56:57], off offset:3840
	global_load_b128 v[40:43], v[56:57], off offset:3856
	;; [unrolled: 1-line block ×6, first 2 shown]
	s_waitcnt vmcnt(5)
	v_mul_f64 v[60:61], v[14:15], v[28:29]
	v_mul_f64 v[28:29], v[2:3], v[28:29]
	s_waitcnt vmcnt(4)
	v_mul_f64 v[62:63], v[16:17], v[42:43]
	v_mul_f64 v[42:43], v[4:5], v[42:43]
	;; [unrolled: 3-line block ×6, first 2 shown]
	v_fma_f64 v[2:3], v[2:3], v[26:27], -v[60:61]
	v_fma_f64 v[14:15], v[14:15], v[26:27], v[28:29]
	v_fma_f64 v[4:5], v[4:5], v[40:41], -v[62:63]
	v_fma_f64 v[16:17], v[16:17], v[40:41], v[42:43]
	;; [unrolled: 2-line block ×6, first 2 shown]
	v_add_f64 v[40:41], v[2:3], v[26:27]
	v_add_f64 v[42:43], v[14:15], v[28:29]
	;; [unrolled: 1-line block ×4, first 2 shown]
	v_add_f64 v[4:5], v[4:5], -v[10:11]
	v_add_f64 v[10:11], v[16:17], -v[22:23]
	v_add_f64 v[16:17], v[6:7], v[8:9]
	v_add_f64 v[22:23], v[18:19], v[20:21]
	v_add_f64 v[6:7], v[8:9], -v[6:7]
	v_add_f64 v[8:9], v[20:21], -v[18:19]
	;; [unrolled: 1-line block ×4, first 2 shown]
	v_add_f64 v[2:3], v[44:45], v[40:41]
	v_add_f64 v[20:21], v[46:47], v[42:43]
	v_add_f64 v[26:27], v[40:41], -v[16:17]
	v_add_f64 v[28:29], v[42:43], -v[22:23]
	v_add_f64 v[48:49], v[6:7], -v[4:5]
	v_add_f64 v[50:51], v[8:9], -v[10:11]
	v_add_f64 v[52:53], v[4:5], -v[18:19]
	v_add_f64 v[54:55], v[10:11], -v[14:15]
	v_add_f64 v[4:5], v[6:7], v[4:5]
	v_add_f64 v[10:11], v[8:9], v[10:11]
	v_add_f64 v[6:7], v[18:19], -v[6:7]
	v_add_f64 v[8:9], v[14:15], -v[8:9]
	v_add_f64 v[56:57], v[16:17], v[2:3]
	v_add_f64 v[20:21], v[22:23], v[20:21]
	v_add_f64 v[16:17], v[16:17], -v[44:45]
	v_add_f64 v[22:23], v[22:23], -v[46:47]
	v_mul_f64 v[26:27], v[26:27], s[16:17]
	v_mul_f64 v[28:29], v[28:29], s[16:17]
	;; [unrolled: 1-line block ×6, first 2 shown]
	v_add_f64 v[4:5], v[4:5], v[18:19]
	v_add_f64 v[10:11], v[10:11], v[14:15]
	;; [unrolled: 1-line block ×4, first 2 shown]
	v_add_f64 v[12:13], v[44:45], -v[40:41]
	v_add_f64 v[40:41], v[46:47], -v[42:43]
	v_mul_f64 v[42:43], v[16:17], s[14:15]
	v_mul_f64 v[44:45], v[22:23], s[14:15]
	v_fma_f64 v[14:15], v[16:17], s[14:15], v[26:27]
	v_fma_f64 v[16:17], v[22:23], s[14:15], v[28:29]
	;; [unrolled: 1-line block ×4, first 2 shown]
	v_fma_f64 v[46:47], v[52:53], s[24:25], -v[48:49]
	v_fma_f64 v[48:49], v[54:55], s[24:25], -v[50:51]
	;; [unrolled: 1-line block ×4, first 2 shown]
	v_fma_f64 v[50:51], v[56:57], s[10:11], v[0:1]
	v_fma_f64 v[20:21], v[20:21], s[10:11], v[2:3]
	v_fma_f64 v[26:27], v[12:13], s[20:21], -v[26:27]
	v_fma_f64 v[28:29], v[40:41], s[20:21], -v[28:29]
	;; [unrolled: 1-line block ×4, first 2 shown]
	v_fma_f64 v[42:43], v[4:5], s[2:3], v[18:19]
	v_fma_f64 v[44:45], v[10:11], s[2:3], v[22:23]
	;; [unrolled: 1-line block ×6, first 2 shown]
	v_add_f64 v[52:53], v[14:15], v[50:51]
	v_add_f64 v[54:55], v[16:17], v[20:21]
	v_add_f64 v[26:27], v[26:27], v[50:51]
	v_add_f64 v[28:29], v[28:29], v[20:21]
	v_add_f64 v[16:17], v[12:13], v[50:51]
	v_add_f64 v[20:21], v[40:41], v[20:21]
	v_add_co_u32 v40, vcc_lo, 0x6000, v30
	v_add_co_ci_u32_e32 v41, vcc_lo, 0, v31, vcc_lo
	v_add_f64 v[4:5], v[44:45], v[52:53]
	v_add_f64 v[6:7], v[54:55], -v[42:43]
	v_add_f64 v[8:9], v[48:49], v[26:27]
	v_add_f64 v[10:11], v[28:29], -v[46:47]
	v_add_f64 v[12:13], v[16:17], -v[22:23]
	v_add_f64 v[14:15], v[18:19], v[20:21]
	v_add_f64 v[16:17], v[22:23], v[16:17]
	v_add_f64 v[18:19], v[20:21], -v[18:19]
	v_add_f64 v[20:21], v[26:27], -v[48:49]
	v_add_f64 v[22:23], v[46:47], v[28:29]
	v_add_f64 v[26:27], v[52:53], -v[44:45]
	v_add_f64 v[28:29], v[42:43], v[54:55]
	s_clause 0x6
	global_store_b128 v[30:31], v[0:3], off offset:3024
	global_store_b128 v[32:33], v[4:7], off offset:2816
	;; [unrolled: 1-line block ×7, first 2 shown]
.LBB0_18:
	s_nop 0
	s_sendmsg sendmsg(MSG_DEALLOC_VGPRS)
	s_endpgm
	.section	.rodata,"a",@progbits
	.p2align	6, 0x0
	.amdhsa_kernel fft_rtc_fwd_len1701_factors_3_3_3_3_3_7_wgs_63_tpt_63_halfLds_dp_ip_CI_unitstride_sbrr_dirReg
		.amdhsa_group_segment_fixed_size 0
		.amdhsa_private_segment_fixed_size 0
		.amdhsa_kernarg_size 88
		.amdhsa_user_sgpr_count 15
		.amdhsa_user_sgpr_dispatch_ptr 0
		.amdhsa_user_sgpr_queue_ptr 0
		.amdhsa_user_sgpr_kernarg_segment_ptr 1
		.amdhsa_user_sgpr_dispatch_id 0
		.amdhsa_user_sgpr_private_segment_size 0
		.amdhsa_wavefront_size32 1
		.amdhsa_uses_dynamic_stack 0
		.amdhsa_enable_private_segment 0
		.amdhsa_system_sgpr_workgroup_id_x 1
		.amdhsa_system_sgpr_workgroup_id_y 0
		.amdhsa_system_sgpr_workgroup_id_z 0
		.amdhsa_system_sgpr_workgroup_info 0
		.amdhsa_system_vgpr_workitem_id 0
		.amdhsa_next_free_vgpr 224
		.amdhsa_next_free_sgpr 26
		.amdhsa_reserve_vcc 1
		.amdhsa_float_round_mode_32 0
		.amdhsa_float_round_mode_16_64 0
		.amdhsa_float_denorm_mode_32 3
		.amdhsa_float_denorm_mode_16_64 3
		.amdhsa_dx10_clamp 1
		.amdhsa_ieee_mode 1
		.amdhsa_fp16_overflow 0
		.amdhsa_workgroup_processor_mode 1
		.amdhsa_memory_ordered 1
		.amdhsa_forward_progress 0
		.amdhsa_shared_vgpr_count 0
		.amdhsa_exception_fp_ieee_invalid_op 0
		.amdhsa_exception_fp_denorm_src 0
		.amdhsa_exception_fp_ieee_div_zero 0
		.amdhsa_exception_fp_ieee_overflow 0
		.amdhsa_exception_fp_ieee_underflow 0
		.amdhsa_exception_fp_ieee_inexact 0
		.amdhsa_exception_int_div_zero 0
	.end_amdhsa_kernel
	.text
.Lfunc_end0:
	.size	fft_rtc_fwd_len1701_factors_3_3_3_3_3_7_wgs_63_tpt_63_halfLds_dp_ip_CI_unitstride_sbrr_dirReg, .Lfunc_end0-fft_rtc_fwd_len1701_factors_3_3_3_3_3_7_wgs_63_tpt_63_halfLds_dp_ip_CI_unitstride_sbrr_dirReg
                                        ; -- End function
	.section	.AMDGPU.csdata,"",@progbits
; Kernel info:
; codeLenInByte = 20300
; NumSgprs: 28
; NumVgprs: 224
; ScratchSize: 0
; MemoryBound: 1
; FloatMode: 240
; IeeeMode: 1
; LDSByteSize: 0 bytes/workgroup (compile time only)
; SGPRBlocks: 3
; VGPRBlocks: 27
; NumSGPRsForWavesPerEU: 28
; NumVGPRsForWavesPerEU: 224
; Occupancy: 6
; WaveLimiterHint : 1
; COMPUTE_PGM_RSRC2:SCRATCH_EN: 0
; COMPUTE_PGM_RSRC2:USER_SGPR: 15
; COMPUTE_PGM_RSRC2:TRAP_HANDLER: 0
; COMPUTE_PGM_RSRC2:TGID_X_EN: 1
; COMPUTE_PGM_RSRC2:TGID_Y_EN: 0
; COMPUTE_PGM_RSRC2:TGID_Z_EN: 0
; COMPUTE_PGM_RSRC2:TIDIG_COMP_CNT: 0
	.text
	.p2alignl 7, 3214868480
	.fill 96, 4, 3214868480
	.type	__hip_cuid_1578b3536c45b79c,@object ; @__hip_cuid_1578b3536c45b79c
	.section	.bss,"aw",@nobits
	.globl	__hip_cuid_1578b3536c45b79c
__hip_cuid_1578b3536c45b79c:
	.byte	0                               ; 0x0
	.size	__hip_cuid_1578b3536c45b79c, 1

	.ident	"AMD clang version 19.0.0git (https://github.com/RadeonOpenCompute/llvm-project roc-6.4.0 25133 c7fe45cf4b819c5991fe208aaa96edf142730f1d)"
	.section	".note.GNU-stack","",@progbits
	.addrsig
	.addrsig_sym __hip_cuid_1578b3536c45b79c
	.amdgpu_metadata
---
amdhsa.kernels:
  - .args:
      - .actual_access:  read_only
        .address_space:  global
        .offset:         0
        .size:           8
        .value_kind:     global_buffer
      - .offset:         8
        .size:           8
        .value_kind:     by_value
      - .actual_access:  read_only
        .address_space:  global
        .offset:         16
        .size:           8
        .value_kind:     global_buffer
      - .actual_access:  read_only
        .address_space:  global
        .offset:         24
        .size:           8
        .value_kind:     global_buffer
      - .offset:         32
        .size:           8
        .value_kind:     by_value
      - .actual_access:  read_only
        .address_space:  global
        .offset:         40
        .size:           8
        .value_kind:     global_buffer
      - .actual_access:  read_only
        .address_space:  global
        .offset:         48
        .size:           8
        .value_kind:     global_buffer
      - .offset:         56
        .size:           4
        .value_kind:     by_value
      - .actual_access:  read_only
        .address_space:  global
        .offset:         64
        .size:           8
        .value_kind:     global_buffer
      - .actual_access:  read_only
        .address_space:  global
        .offset:         72
        .size:           8
        .value_kind:     global_buffer
      - .address_space:  global
        .offset:         80
        .size:           8
        .value_kind:     global_buffer
    .group_segment_fixed_size: 0
    .kernarg_segment_align: 8
    .kernarg_segment_size: 88
    .language:       OpenCL C
    .language_version:
      - 2
      - 0
    .max_flat_workgroup_size: 63
    .name:           fft_rtc_fwd_len1701_factors_3_3_3_3_3_7_wgs_63_tpt_63_halfLds_dp_ip_CI_unitstride_sbrr_dirReg
    .private_segment_fixed_size: 0
    .sgpr_count:     28
    .sgpr_spill_count: 0
    .symbol:         fft_rtc_fwd_len1701_factors_3_3_3_3_3_7_wgs_63_tpt_63_halfLds_dp_ip_CI_unitstride_sbrr_dirReg.kd
    .uniform_work_group_size: 1
    .uses_dynamic_stack: false
    .vgpr_count:     224
    .vgpr_spill_count: 0
    .wavefront_size: 32
    .workgroup_processor_mode: 1
amdhsa.target:   amdgcn-amd-amdhsa--gfx1100
amdhsa.version:
  - 1
  - 2
...

	.end_amdgpu_metadata
